;; amdgpu-corpus repo=ROCm/rocFFT kind=compiled arch=gfx906 opt=O3
	.text
	.amdgcn_target "amdgcn-amd-amdhsa--gfx906"
	.amdhsa_code_object_version 6
	.protected	bluestein_single_fwd_len578_dim1_dp_op_CI_CI ; -- Begin function bluestein_single_fwd_len578_dim1_dp_op_CI_CI
	.globl	bluestein_single_fwd_len578_dim1_dp_op_CI_CI
	.p2align	8
	.type	bluestein_single_fwd_len578_dim1_dp_op_CI_CI,@function
bluestein_single_fwd_len578_dim1_dp_op_CI_CI: ; @bluestein_single_fwd_len578_dim1_dp_op_CI_CI
; %bb.0:
	v_mul_u32_u24_e32 v1, 0x788, v0
	s_mov_b64 s[66:67], s[2:3]
	s_load_dwordx4 s[16:19], s[4:5], 0x28
	v_lshrrev_b32_e32 v1, 16, v1
	s_mov_b64 s[64:65], s[0:1]
	v_mad_u64_u32 v[236:237], s[0:1], s6, 7, v[1:2]
	v_mov_b32_e32 v237, 0
	s_add_u32 s64, s64, s7
	s_waitcnt lgkmcnt(0)
	v_cmp_gt_u64_e32 vcc, s[16:17], v[236:237]
	s_addc_u32 s65, s65, 0
	s_and_saveexec_b64 s[0:1], vcc
	s_cbranch_execz .LBB0_10
; %bb.1:
	s_load_dwordx4 s[0:3], s[4:5], 0x18
	s_load_dwordx4 s[12:15], s[4:5], 0x0
	v_mul_lo_u16_e32 v1, 34, v1
	v_sub_u16_e32 v237, v0, v1
	v_lshlrev_b32_e32 v72, 4, v237
	s_waitcnt lgkmcnt(0)
	s_load_dwordx4 s[8:11], s[0:1], 0x0
	global_load_dwordx4 v[18:21], v72, s[12:13]
	s_movk_i32 s33, 0x1000
	s_mov_b32 s30, 0x5d8e7cdc
	s_mov_b32 s31, 0xbfd71e95
	s_waitcnt lgkmcnt(0)
	v_mad_u64_u32 v[0:1], s[0:1], s10, v236, 0
	v_mad_u64_u32 v[2:3], s[0:1], s8, v237, 0
	s_mul_hi_u32 s6, s8, 0x220
	s_mov_b32 s24, 0x370991
	v_mad_u64_u32 v[4:5], s[0:1], s11, v236, v[1:2]
	s_mov_b32 s36, 0x4363dd80
	s_mov_b32 s25, 0x3fedd6d0
	v_mad_u64_u32 v[5:6], s[0:1], s9, v237, v[3:4]
	v_mov_b32_e32 v1, v4
	v_lshlrev_b64 v[0:1], 4, v[0:1]
	v_mov_b32_e32 v6, s19
	v_mov_b32_e32 v3, v5
	v_add_co_u32_e32 v4, vcc, s18, v0
	v_addc_co_u32_e32 v5, vcc, v6, v1, vcc
	v_lshlrev_b64 v[0:1], 4, v[2:3]
	s_mov_b32 s0, 0x24924925
	v_add_co_u32_e32 v4, vcc, v4, v0
	v_addc_co_u32_e32 v5, vcc, v5, v1, vcc
	global_load_dwordx4 v[68:71], v[4:5], off
	v_mov_b32_e32 v1, s13
	v_add_co_u32_e32 v2, vcc, s12, v72
	v_addc_co_u32_e32 v1, vcc, 0, v1, vcc
	v_add_co_u32_e32 v6, vcc, s33, v2
	s_mul_i32 s1, s9, 0x220
	v_mul_hi_u32 v0, v236, s0
	v_addc_co_u32_e32 v7, vcc, 0, v1, vcc
	s_mul_i32 s0, s8, 0x220
	s_add_i32 s1, s6, s1
	v_mov_b32_e32 v3, s1
	v_add_co_u32_e32 v4, vcc, s0, v4
	v_addc_co_u32_e32 v5, vcc, v5, v3, vcc
	global_load_dwordx4 v[64:67], v72, s[12:13] offset:544
	global_load_dwordx4 v[60:63], v72, s[12:13] offset:1088
	;; [unrolled: 1-line block ×7, first 2 shown]
	v_mov_b32_e32 v8, s1
	global_load_dwordx4 v[73:76], v[4:5], off
	v_add_co_u32_e32 v4, vcc, s0, v4
	v_addc_co_u32_e32 v5, vcc, v5, v8, vcc
	v_mov_b32_e32 v9, s1
	v_add_co_u32_e32 v12, vcc, s0, v4
	v_addc_co_u32_e32 v13, vcc, v5, v9, vcc
	v_mov_b32_e32 v10, s1
	global_load_dwordx4 v[77:80], v[4:5], off
	global_load_dwordx4 v[81:84], v[12:13], off
	v_add_co_u32_e32 v4, vcc, s0, v12
	v_addc_co_u32_e32 v5, vcc, v13, v10, vcc
	v_mov_b32_e32 v11, s1
	global_load_dwordx4 v[85:88], v[4:5], off
	v_add_co_u32_e32 v4, vcc, s0, v4
	v_addc_co_u32_e32 v5, vcc, v5, v11, vcc
	v_mov_b32_e32 v14, s1
	global_load_dwordx4 v[89:92], v[4:5], off
	v_add_co_u32_e32 v4, vcc, s0, v4
	v_addc_co_u32_e32 v5, vcc, v5, v14, vcc
	v_mov_b32_e32 v15, s1
	global_load_dwordx4 v[93:96], v[4:5], off
	v_add_co_u32_e32 v4, vcc, s0, v4
	v_addc_co_u32_e32 v5, vcc, v5, v15, vcc
	v_mov_b32_e32 v16, s1
	global_load_dwordx4 v[97:100], v[4:5], off
	v_add_co_u32_e32 v4, vcc, s0, v4
	v_addc_co_u32_e32 v5, vcc, v5, v16, vcc
	v_mov_b32_e32 v17, s1
	global_load_dwordx4 v[101:104], v[4:5], off
	v_add_co_u32_e32 v4, vcc, s0, v4
	v_addc_co_u32_e32 v5, vcc, v5, v17, vcc
	global_load_dwordx4 v[105:108], v[4:5], off
	global_load_dwordx4 v[149:152], v[6:7], off offset:256
	global_load_dwordx4 v[30:33], v[6:7], off offset:800
	v_add_co_u32_e32 v4, vcc, s0, v4
	v_addc_co_u32_e32 v5, vcc, v5, v3, vcc
	global_load_dwordx4 v[109:112], v[4:5], off
	v_add_co_u32_e32 v4, vcc, s0, v4
	v_addc_co_u32_e32 v5, vcc, v5, v3, vcc
	global_load_dwordx4 v[113:116], v[4:5], off
	global_load_dwordx4 v[46:49], v[6:7], off offset:1344
	global_load_dwordx4 v[12:15], v[6:7], off offset:1888
	v_add_co_u32_e32 v4, vcc, s0, v4
	v_addc_co_u32_e32 v5, vcc, v5, v3, vcc
	global_load_dwordx4 v[117:120], v[4:5], off
	v_add_co_u32_e32 v4, vcc, s0, v4
	v_addc_co_u32_e32 v5, vcc, v5, v3, vcc
	s_waitcnt vmcnt(23)
	v_mul_f64 v[137:138], v[70:71], v[20:21]
	global_load_dwordx4 v[121:124], v[4:5], off
	global_load_dwordx4 v[42:45], v[6:7], off offset:2432
	global_load_dwordx4 v[8:11], v[6:7], off offset:2976
	v_add_co_u32_e32 v4, vcc, s0, v4
	v_addc_co_u32_e32 v5, vcc, v5, v3, vcc
	v_add_co_u32_e32 v28, vcc, s0, v4
	v_addc_co_u32_e32 v29, vcc, v5, v3, vcc
	global_load_dwordx4 v[125:128], v[4:5], off
	global_load_dwordx4 v[129:132], v[28:29], off
	global_load_dwordx4 v[38:41], v[6:7], off offset:3520
	s_nop 0
	global_load_dwordx4 v[4:7], v[6:7], off offset:4064
	v_add_co_u32_e32 v28, vcc, s0, v28
	v_addc_co_u32_e32 v29, vcc, v29, v3, vcc
	s_movk_i32 s0, 0x2000
	global_load_dwordx4 v[133:136], v[28:29], off
	v_add_co_u32_e32 v28, vcc, s0, v2
	v_addc_co_u32_e32 v29, vcc, 0, v1, vcc
	global_load_dwordx4 v[26:29], v[28:29], off offset:512
	v_mul_f64 v[139:140], v[68:69], v[20:21]
	v_fma_f64 v[68:69], v[68:69], v[18:19], v[137:138]
	buffer_store_dword v18, off, s[64:67], 0 ; 4-byte Folded Spill
	s_nop 0
	buffer_store_dword v19, off, s[64:67], 0 offset:4 ; 4-byte Folded Spill
	buffer_store_dword v20, off, s[64:67], 0 offset:8 ; 4-byte Folded Spill
	;; [unrolled: 1-line block ×3, first 2 shown]
	v_sub_u32_e32 v1, v236, v0
	v_lshrrev_b32_e32 v1, 1, v1
	v_add_u32_e32 v0, v1, v0
	v_lshrrev_b32_e32 v0, 2, v0
	v_mul_lo_u32 v0, v0, 7
	s_waitcnt vmcnt(27)
	v_mul_f64 v[137:138], v[79:80], v[62:63]
	s_waitcnt vmcnt(26)
	v_mul_f64 v[141:142], v[83:84], v[58:59]
	v_mul_f64 v[143:144], v[81:82], v[58:59]
	v_sub_u32_e32 v0, v236, v0
	v_mul_u32_u24_e32 v0, 0x242, v0
	v_lshlrev_b32_e32 v210, 4, v0
	v_add_u32_e32 v238, v72, v210
	s_waitcnt vmcnt(25)
	v_mul_f64 v[145:146], v[87:88], v[54:55]
	v_mul_f64 v[147:148], v[85:86], v[54:55]
	s_load_dwordx4 s[8:11], s[2:3], 0x0
	s_mov_b32 s37, 0xbfe0d888
	s_mov_b32 s46, 0x2a9d6da3
	;; [unrolled: 1-line block ×43, first 2 shown]
	s_movk_i32 s0, 0xffef
	v_mul_lo_u16_e32 v0, 17, v237
	v_lshl_add_u32 v243, v0, 4, v210
	v_mov_b32_e32 v0, s15
	v_fma_f64 v[70:71], v[70:71], v[18:19], -v[139:140]
	v_mul_f64 v[139:140], v[77:78], v[62:63]
	ds_write_b128 v238, v[68:71]
	v_mul_f64 v[68:69], v[75:76], v[66:67]
	v_mul_f64 v[70:71], v[73:74], v[66:67]
	v_fma_f64 v[68:69], v[73:74], v[64:65], v[68:69]
	v_fma_f64 v[70:71], v[75:76], v[64:65], -v[70:71]
	v_fma_f64 v[72:73], v[77:78], v[60:61], v[137:138]
	v_fma_f64 v[74:75], v[79:80], v[60:61], -v[139:140]
	;; [unrolled: 2-line block ×3, first 2 shown]
	v_fma_f64 v[80:81], v[85:86], v[52:53], v[145:146]
	s_waitcnt vmcnt(24)
	v_mul_f64 v[84:85], v[91:92], v[155:156]
	s_waitcnt vmcnt(23)
	v_mul_f64 v[137:138], v[95:96], v[36:37]
	v_fma_f64 v[82:83], v[87:88], v[52:53], -v[147:148]
	v_mul_f64 v[86:87], v[89:90], v[155:156]
	v_mul_f64 v[139:140], v[93:94], v[36:37]
	s_waitcnt vmcnt(22)
	v_mul_f64 v[141:142], v[99:100], v[24:25]
	s_waitcnt vmcnt(19)
	v_mul_f64 v[145:146], v[103:104], v[151:152]
	v_mul_f64 v[143:144], v[97:98], v[24:25]
	v_fma_f64 v[84:85], v[89:90], v[153:154], v[84:85]
	buffer_store_dword v153, off, s[64:67], 0 offset:192 ; 4-byte Folded Spill
	s_nop 0
	buffer_store_dword v154, off, s[64:67], 0 offset:196 ; 4-byte Folded Spill
	buffer_store_dword v155, off, s[64:67], 0 offset:200 ; 4-byte Folded Spill
	;; [unrolled: 1-line block ×3, first 2 shown]
	v_fma_f64 v[88:89], v[93:94], v[34:35], v[137:138]
	buffer_store_dword v34, off, s[64:67], 0 offset:96 ; 4-byte Folded Spill
	s_nop 0
	buffer_store_dword v35, off, s[64:67], 0 offset:100 ; 4-byte Folded Spill
	buffer_store_dword v36, off, s[64:67], 0 offset:104 ; 4-byte Folded Spill
	;; [unrolled: 1-line block ×3, first 2 shown]
	v_mul_f64 v[147:148], v[101:102], v[151:152]
	v_fma_f64 v[86:87], v[91:92], v[153:154], -v[86:87]
	v_fma_f64 v[92:93], v[97:98], v[22:23], v[141:142]
	buffer_store_dword v22, off, s[64:67], 0 offset:32 ; 4-byte Folded Spill
	s_nop 0
	buffer_store_dword v23, off, s[64:67], 0 offset:36 ; 4-byte Folded Spill
	buffer_store_dword v24, off, s[64:67], 0 offset:40 ; 4-byte Folded Spill
	;; [unrolled: 1-line block ×3, first 2 shown]
	v_fma_f64 v[90:91], v[95:96], v[34:35], -v[139:140]
	v_fma_f64 v[96:97], v[101:102], v[149:150], v[145:146]
	buffer_store_dword v149, off, s[64:67], 0 offset:176 ; 4-byte Folded Spill
	s_nop 0
	buffer_store_dword v150, off, s[64:67], 0 offset:180 ; 4-byte Folded Spill
	buffer_store_dword v151, off, s[64:67], 0 offset:184 ; 4-byte Folded Spill
	;; [unrolled: 1-line block ×3, first 2 shown]
	v_fma_f64 v[94:95], v[99:100], v[22:23], -v[143:144]
	v_fma_f64 v[98:99], v[103:104], v[149:150], -v[147:148]
	ds_write_b128 v238, v[68:71] offset:544
	ds_write_b128 v238, v[72:75] offset:1088
	;; [unrolled: 1-line block ×8, first 2 shown]
	s_waitcnt vmcnt(34)
	v_mul_f64 v[68:69], v[107:108], v[32:33]
	s_waitcnt vmcnt(31)
	v_mul_f64 v[72:73], v[111:112], v[48:49]
	;; [unrolled: 2-line block ×8, first 2 shown]
	v_mul_f64 v[70:71], v[105:106], v[32:33]
	v_fma_f64 v[68:69], v[105:106], v[30:31], v[68:69]
	buffer_store_dword v30, off, s[64:67], 0 offset:80 ; 4-byte Folded Spill
	s_nop 0
	buffer_store_dword v31, off, s[64:67], 0 offset:84 ; 4-byte Folded Spill
	buffer_store_dword v32, off, s[64:67], 0 offset:88 ; 4-byte Folded Spill
	buffer_store_dword v33, off, s[64:67], 0 offset:92 ; 4-byte Folded Spill
	v_mul_f64 v[74:75], v[109:110], v[48:49]
	v_fma_f64 v[72:73], v[109:110], v[46:47], v[72:73]
	buffer_store_dword v46, off, s[64:67], 0 offset:160 ; 4-byte Folded Spill
	s_nop 0
	buffer_store_dword v47, off, s[64:67], 0 offset:164 ; 4-byte Folded Spill
	buffer_store_dword v48, off, s[64:67], 0 offset:168 ; 4-byte Folded Spill
	buffer_store_dword v49, off, s[64:67], 0 offset:172 ; 4-byte Folded Spill
	;; [unrolled: 7-line block ×8, first 2 shown]
	v_fma_f64 v[70:71], v[107:108], v[30:31], -v[70:71]
	v_fma_f64 v[74:75], v[111:112], v[46:47], -v[74:75]
	;; [unrolled: 1-line block ×8, first 2 shown]
	ds_write_b128 v238, v[68:71] offset:4896
	ds_write_b128 v238, v[72:75] offset:5440
	;; [unrolled: 1-line block ×8, first 2 shown]
	s_waitcnt vmcnt(0) lgkmcnt(0)
	s_barrier
	ds_read_b128 v[112:115], v238
	ds_read_b128 v[68:71], v238 offset:544
	ds_read_b128 v[116:119], v238 offset:1088
	;; [unrolled: 1-line block ×7, first 2 shown]
	s_waitcnt lgkmcnt(6)
	v_add_f64 v[72:73], v[112:113], v[68:69]
	v_add_f64 v[74:75], v[114:115], v[70:71]
	s_waitcnt lgkmcnt(5)
	v_add_f64 v[72:73], v[72:73], v[116:117]
	v_add_f64 v[74:75], v[74:75], v[118:119]
	;; [unrolled: 3-line block ×7, first 2 shown]
	ds_read_b128 v[72:75], v238 offset:4352
	ds_read_b128 v[76:79], v238 offset:4896
	s_waitcnt lgkmcnt(1)
	v_add_f64 v[84:85], v[84:85], v[72:73]
	v_add_f64 v[86:87], v[86:87], v[74:75]
	s_waitcnt lgkmcnt(0)
	v_add_f64 v[100:101], v[84:85], v[76:77]
	v_add_f64 v[102:103], v[86:87], v[78:79]
	ds_read_b128 v[84:87], v238 offset:5440
	ds_read_b128 v[92:95], v238 offset:5984
	s_waitcnt lgkmcnt(1)
	v_add_f64 v[100:101], v[100:101], v[84:85]
	v_add_f64 v[102:103], v[102:103], v[86:87]
	s_waitcnt lgkmcnt(0)
	v_add_f64 v[124:125], v[100:101], v[92:93]
	v_add_f64 v[126:127], v[102:103], v[94:95]
	ds_read_b128 v[100:103], v238 offset:6528
	ds_read_b128 v[108:111], v238 offset:7072
	s_waitcnt lgkmcnt(1)
	v_add_f64 v[128:129], v[124:125], v[100:101]
	v_add_f64 v[130:131], v[126:127], v[102:103]
	ds_read_b128 v[124:127], v238 offset:8704
	s_waitcnt lgkmcnt(0)
	v_add_f64 v[140:141], v[70:71], -v[126:127]
	v_add_f64 v[136:137], v[128:129], v[108:109]
	v_add_f64 v[138:139], v[130:131], v[110:111]
	v_add_f64 v[142:143], v[68:69], -v[124:125]
	ds_read_b128 v[128:131], v238 offset:7616
	ds_read_b128 v[132:135], v238 offset:8160
	v_add_f64 v[144:145], v[68:69], v[124:125]
	v_add_f64 v[146:147], v[70:71], v[126:127]
	s_waitcnt lgkmcnt(0)
	v_mul_f64 v[148:149], v[140:141], s[30:31]
	v_add_f64 v[136:137], v[136:137], v[128:129]
	v_add_f64 v[138:139], v[138:139], v[130:131]
	v_mul_f64 v[150:151], v[142:143], s[30:31]
	v_mul_f64 v[184:185], v[140:141], s[36:37]
	;; [unrolled: 1-line block ×3, first 2 shown]
	v_add_f64 v[196:197], v[118:119], -v[134:135]
	v_add_f64 v[198:199], v[116:117], -v[132:133]
	v_mul_f64 v[152:153], v[140:141], s[2:3]
	v_add_f64 v[68:69], v[136:137], v[132:133]
	v_add_f64 v[70:71], v[138:139], v[134:135]
	v_fma_f64 v[136:137], v[144:145], s[24:25], -v[148:149]
	v_fma_f64 v[138:139], v[146:147], s[24:25], v[150:151]
	v_mul_f64 v[154:155], v[142:143], s[2:3]
	v_mul_f64 v[164:165], v[140:141], s[42:43]
	;; [unrolled: 1-line block ×4, first 2 shown]
	v_add_f64 v[68:69], v[68:69], v[124:125]
	v_add_f64 v[70:71], v[70:71], v[126:127]
	;; [unrolled: 1-line block ×4, first 2 shown]
	v_fma_f64 v[136:137], v[144:145], s[24:25], v[148:149]
	v_fma_f64 v[138:139], v[146:147], s[24:25], -v[150:151]
	v_mul_f64 v[148:149], v[140:141], s[46:47]
	v_mul_f64 v[150:151], v[142:143], s[46:47]
	;; [unrolled: 1-line block ×5, first 2 shown]
	v_fma_f64 v[192:193], v[144:145], s[34:35], -v[184:185]
	v_fma_f64 v[194:195], v[146:147], s[34:35], v[186:187]
	v_fma_f64 v[184:185], v[144:145], s[34:35], v[184:185]
	v_fma_f64 v[186:187], v[146:147], s[34:35], -v[186:187]
	v_mul_f64 v[140:141], v[140:141], s[38:39]
	v_mul_f64 v[142:143], v[142:143], s[38:39]
	v_add_f64 v[116:117], v[116:117], v[132:133]
	v_add_f64 v[118:119], v[118:119], v[134:135]
	v_mul_f64 v[132:133], v[196:197], s[46:47]
	v_mul_f64 v[134:135], v[198:199], s[46:47]
	v_fma_f64 v[156:157], v[144:145], s[18:19], -v[148:149]
	v_fma_f64 v[158:159], v[146:147], s[18:19], v[150:151]
	v_fma_f64 v[148:149], v[144:145], s[18:19], v[148:149]
	v_fma_f64 v[150:151], v[146:147], s[18:19], -v[150:151]
	v_fma_f64 v[160:161], v[144:145], s[16:17], -v[152:153]
	v_fma_f64 v[162:163], v[146:147], s[16:17], v[154:155]
	v_fma_f64 v[152:153], v[144:145], s[16:17], v[152:153]
	v_fma_f64 v[154:155], v[146:147], s[16:17], -v[154:155]
	;; [unrolled: 4-line block ×6, first 2 shown]
	v_add_f64 v[144:145], v[112:113], v[184:185]
	v_add_f64 v[146:147], v[114:115], v[186:187]
	v_fma_f64 v[184:185], v[116:117], s[18:19], -v[132:133]
	v_fma_f64 v[186:187], v[118:119], s[18:19], v[134:135]
	v_add_f64 v[136:137], v[112:113], v[136:137]
	v_add_f64 v[138:139], v[114:115], v[138:139]
	;; [unrolled: 1-line block ×28, first 2 shown]
	v_mul_f64 v[140:141], v[196:197], s[42:43]
	v_mul_f64 v[142:143], v[198:199], s[42:43]
	v_add_f64 v[124:125], v[184:185], v[124:125]
	v_add_f64 v[126:127], v[186:187], v[126:127]
	v_mul_f64 v[184:185], v[196:197], s[28:29]
	v_mul_f64 v[186:187], v[198:199], s[28:29]
	v_fma_f64 v[132:133], v[116:117], s[18:19], v[132:133]
	v_fma_f64 v[134:135], v[118:119], s[18:19], -v[134:135]
	v_fma_f64 v[204:205], v[116:117], s[6:7], -v[140:141]
	v_fma_f64 v[206:207], v[118:119], s[6:7], v[142:143]
	v_fma_f64 v[140:141], v[116:117], s[6:7], v[140:141]
	v_fma_f64 v[142:143], v[118:119], s[6:7], -v[142:143]
	v_fma_f64 v[208:209], v[116:117], s[26:27], -v[184:185]
	v_fma_f64 v[211:212], v[118:119], s[26:27], v[186:187]
	v_add_f64 v[132:133], v[132:133], v[136:137]
	v_add_f64 v[134:135], v[134:135], v[138:139]
	;; [unrolled: 1-line block ×8, first 2 shown]
	v_mul_f64 v[156:157], v[196:197], s[38:39]
	v_mul_f64 v[158:159], v[198:199], s[38:39]
	;; [unrolled: 1-line block ×4, first 2 shown]
	v_fma_f64 v[184:185], v[116:117], s[26:27], v[184:185]
	v_fma_f64 v[186:187], v[118:119], s[26:27], -v[186:187]
	s_barrier
	v_fma_f64 v[204:205], v[116:117], s[40:41], -v[156:157]
	v_fma_f64 v[206:207], v[118:119], s[40:41], v[158:159]
	v_fma_f64 v[156:157], v[116:117], s[40:41], v[156:157]
	v_fma_f64 v[158:159], v[118:119], s[40:41], -v[158:159]
	v_fma_f64 v[208:209], v[116:117], s[34:35], -v[160:161]
	v_fma_f64 v[211:212], v[118:119], s[34:35], v[162:163]
	v_add_f64 v[152:153], v[184:185], v[152:153]
	v_add_f64 v[154:155], v[186:187], v[154:155]
	v_add_f64 v[172:173], v[204:205], v[172:173]
	v_add_f64 v[174:175], v[206:207], v[174:175]
	v_add_f64 v[156:157], v[156:157], v[164:165]
	v_add_f64 v[158:159], v[158:159], v[166:167]
	v_add_f64 v[164:165], v[208:209], v[176:177]
	v_add_f64 v[166:167], v[211:212], v[178:179]
	v_mul_f64 v[176:177], v[196:197], s[54:55]
	v_mul_f64 v[178:179], v[198:199], s[54:55]
	;; [unrolled: 1-line block ×4, first 2 shown]
	v_fma_f64 v[160:161], v[116:117], s[34:35], v[160:161]
	v_fma_f64 v[162:163], v[118:119], s[34:35], -v[162:163]
	v_fma_f64 v[204:205], v[116:117], s[20:21], -v[176:177]
	v_fma_f64 v[206:207], v[118:119], s[20:21], v[178:179]
	v_fma_f64 v[176:177], v[116:117], s[20:21], v[176:177]
	v_fma_f64 v[178:179], v[118:119], s[20:21], -v[178:179]
	v_fma_f64 v[208:209], v[116:117], s[16:17], -v[184:185]
	v_fma_f64 v[211:212], v[118:119], s[16:17], v[186:187]
	v_add_f64 v[160:161], v[160:161], v[168:169]
	v_add_f64 v[162:163], v[162:163], v[170:171]
	;; [unrolled: 1-line block ×4, first 2 shown]
	v_add_f64 v[188:189], v[122:123], -v[130:131]
	v_add_f64 v[190:191], v[120:121], -v[128:129]
	v_add_f64 v[176:177], v[176:177], v[180:181]
	v_add_f64 v[178:179], v[178:179], v[182:183]
	;; [unrolled: 1-line block ×4, first 2 shown]
	v_mul_f64 v[192:193], v[196:197], s[48:49]
	v_mul_f64 v[194:195], v[198:199], s[48:49]
	v_add_f64 v[120:121], v[120:121], v[128:129]
	v_add_f64 v[122:123], v[122:123], v[130:131]
	v_mul_f64 v[128:129], v[188:189], s[2:3]
	v_mul_f64 v[130:131], v[190:191], s[2:3]
	v_fma_f64 v[184:185], v[116:117], s[16:17], v[184:185]
	v_fma_f64 v[186:187], v[118:119], s[16:17], -v[186:187]
	v_fma_f64 v[196:197], v[116:117], s[24:25], -v[192:193]
	v_fma_f64 v[198:199], v[118:119], s[24:25], v[194:195]
	v_fma_f64 v[116:117], v[116:117], s[24:25], v[192:193]
	v_fma_f64 v[118:119], v[118:119], s[24:25], -v[194:195]
	v_fma_f64 v[192:193], v[120:121], s[16:17], -v[128:129]
	v_fma_f64 v[194:195], v[122:123], s[16:17], v[130:131]
	v_add_f64 v[144:145], v[184:185], v[144:145]
	v_add_f64 v[146:147], v[186:187], v[146:147]
	;; [unrolled: 1-line block ×8, first 2 shown]
	v_mul_f64 v[124:125], v[188:189], s[28:29]
	v_mul_f64 v[126:127], v[190:191], s[28:29]
	;; [unrolled: 1-line block ×4, first 2 shown]
	v_fma_f64 v[128:129], v[120:121], s[16:17], v[128:129]
	v_fma_f64 v[130:131], v[122:123], s[16:17], -v[130:131]
	v_add_co_u32_e32 v208, vcc, s0, v237
	v_fma_f64 v[196:197], v[120:121], s[26:27], -v[124:125]
	v_fma_f64 v[198:199], v[122:123], s[26:27], v[126:127]
	v_fma_f64 v[124:125], v[120:121], s[26:27], v[124:125]
	v_fma_f64 v[126:127], v[122:123], s[26:27], -v[126:127]
	v_fma_f64 v[200:201], v[120:121], s[40:41], -v[192:193]
	v_fma_f64 v[202:203], v[122:123], s[40:41], v[194:195]
	v_add_f64 v[128:129], v[128:129], v[132:133]
	v_add_f64 v[130:131], v[130:131], v[134:135]
	;; [unrolled: 1-line block ×8, first 2 shown]
	v_mul_f64 v[140:141], v[188:189], s[54:55]
	v_mul_f64 v[142:143], v[190:191], s[54:55]
	v_fma_f64 v[148:149], v[120:121], s[40:41], v[192:193]
	v_fma_f64 v[150:151], v[122:123], s[40:41], -v[194:195]
	v_mul_f64 v[192:193], v[188:189], s[50:51]
	v_mul_f64 v[194:195], v[190:191], s[50:51]
	v_addc_co_u32_e64 v209, s[0:1], 0, -1, vcc
	v_fma_f64 v[196:197], v[120:121], s[20:21], -v[140:141]
	v_fma_f64 v[198:199], v[122:123], s[20:21], v[142:143]
	v_fma_f64 v[140:141], v[120:121], s[20:21], v[140:141]
	v_fma_f64 v[142:143], v[122:123], s[20:21], -v[142:143]
	v_add_f64 v[148:149], v[148:149], v[152:153]
	v_add_f64 v[150:151], v[150:151], v[154:155]
	v_fma_f64 v[152:153], v[120:121], s[18:19], -v[192:193]
	v_fma_f64 v[154:155], v[122:123], s[18:19], v[194:195]
	v_add_f64 v[172:173], v[196:197], v[172:173]
	v_add_f64 v[174:175], v[198:199], v[174:175]
	;; [unrolled: 1-line block ×4, first 2 shown]
	v_mul_f64 v[156:157], v[188:189], s[30:31]
	v_mul_f64 v[158:159], v[190:191], s[30:31]
	v_add_f64 v[152:153], v[152:153], v[164:165]
	v_add_f64 v[154:155], v[154:155], v[166:167]
	v_mul_f64 v[164:165], v[188:189], s[42:43]
	v_mul_f64 v[166:167], v[190:191], s[42:43]
	v_fma_f64 v[192:193], v[120:121], s[18:19], v[192:193]
	v_fma_f64 v[194:195], v[122:123], s[18:19], -v[194:195]
	v_fma_f64 v[196:197], v[120:121], s[24:25], -v[156:157]
	v_fma_f64 v[198:199], v[122:123], s[24:25], v[158:159]
	v_fma_f64 v[156:157], v[120:121], s[24:25], v[156:157]
	v_fma_f64 v[158:159], v[122:123], s[24:25], -v[158:159]
	v_fma_f64 v[200:201], v[120:121], s[6:7], -v[164:165]
	v_fma_f64 v[202:203], v[122:123], s[6:7], v[166:167]
	v_mul_f64 v[188:189], v[188:189], s[36:37]
	v_mul_f64 v[190:191], v[190:191], s[36:37]
	v_fma_f64 v[164:165], v[120:121], s[6:7], v[164:165]
	v_fma_f64 v[166:167], v[122:123], s[6:7], -v[166:167]
	v_add_f64 v[156:157], v[156:157], v[176:177]
	v_add_f64 v[158:159], v[158:159], v[178:179]
	;; [unrolled: 1-line block ×4, first 2 shown]
	v_add_f64 v[180:181], v[106:107], -v[110:111]
	v_add_f64 v[182:183], v[104:105], -v[108:109]
	v_add_f64 v[104:105], v[104:105], v[108:109]
	v_add_f64 v[106:107], v[106:107], v[110:111]
	;; [unrolled: 1-line block ×4, first 2 shown]
	v_fma_f64 v[192:193], v[120:121], s[34:35], -v[188:189]
	v_fma_f64 v[194:195], v[122:123], s[34:35], v[190:191]
	v_mul_f64 v[108:109], v[180:181], s[42:43]
	v_mul_f64 v[110:111], v[182:183], s[42:43]
	v_fma_f64 v[120:121], v[120:121], s[34:35], v[188:189]
	v_fma_f64 v[122:123], v[122:123], s[34:35], -v[190:191]
	v_add_f64 v[144:145], v[164:165], v[144:145]
	v_add_f64 v[146:147], v[166:167], v[146:147]
	;; [unrolled: 1-line block ×4, first 2 shown]
	v_fma_f64 v[164:165], v[104:105], s[6:7], -v[108:109]
	v_fma_f64 v[166:167], v[106:107], s[6:7], v[110:111]
	v_add_f64 v[112:113], v[120:121], v[112:113]
	v_add_f64 v[114:115], v[122:123], v[114:115]
	v_mul_f64 v[120:121], v[180:181], s[38:39]
	v_mul_f64 v[122:123], v[182:183], s[38:39]
	v_fma_f64 v[108:109], v[104:105], s[6:7], v[108:109]
	v_fma_f64 v[110:111], v[106:107], s[6:7], -v[110:111]
	v_add_f64 v[116:117], v[164:165], v[116:117]
	v_add_f64 v[118:119], v[166:167], v[118:119]
	v_mul_f64 v[164:165], v[180:181], s[54:55]
	v_mul_f64 v[166:167], v[182:183], s[54:55]
	v_fma_f64 v[188:189], v[104:105], s[40:41], -v[120:121]
	v_fma_f64 v[190:191], v[106:107], s[40:41], v[122:123]
	v_fma_f64 v[120:121], v[104:105], s[40:41], v[120:121]
	v_fma_f64 v[122:123], v[106:107], s[40:41], -v[122:123]
	v_add_f64 v[108:109], v[108:109], v[128:129]
	v_add_f64 v[110:111], v[110:111], v[130:131]
	v_fma_f64 v[128:129], v[104:105], s[20:21], -v[164:165]
	v_fma_f64 v[130:131], v[106:107], s[20:21], v[166:167]
	v_add_f64 v[132:133], v[188:189], v[132:133]
	v_add_f64 v[134:135], v[190:191], v[134:135]
	;; [unrolled: 1-line block ×4, first 2 shown]
	v_mul_f64 v[124:125], v[180:181], s[48:49]
	v_mul_f64 v[126:127], v[182:183], s[48:49]
	v_add_f64 v[128:129], v[128:129], v[136:137]
	v_add_f64 v[130:131], v[130:131], v[138:139]
	v_mul_f64 v[136:137], v[180:181], s[2:3]
	v_mul_f64 v[138:139], v[182:183], s[2:3]
	v_fma_f64 v[164:165], v[104:105], s[20:21], v[164:165]
	v_fma_f64 v[166:167], v[106:107], s[20:21], -v[166:167]
	v_fma_f64 v[188:189], v[104:105], s[24:25], -v[124:125]
	v_fma_f64 v[190:191], v[106:107], s[24:25], v[126:127]
	v_fma_f64 v[124:125], v[104:105], s[24:25], v[124:125]
	v_fma_f64 v[126:127], v[106:107], s[24:25], -v[126:127]
	v_fma_f64 v[192:193], v[104:105], s[16:17], -v[136:137]
	v_fma_f64 v[194:195], v[106:107], s[16:17], v[138:139]
	v_add_f64 v[148:149], v[164:165], v[148:149]
	v_add_f64 v[150:151], v[166:167], v[150:151]
	;; [unrolled: 1-line block ×8, first 2 shown]
	v_mul_f64 v[152:153], v[180:181], s[36:37]
	v_mul_f64 v[154:155], v[182:183], s[36:37]
	v_fma_f64 v[136:137], v[104:105], s[16:17], v[136:137]
	v_fma_f64 v[138:139], v[106:107], s[16:17], -v[138:139]
	v_mul_f64 v[172:173], v[180:181], s[56:57]
	v_mul_f64 v[174:175], v[182:183], s[56:57]
	v_add_f64 v[168:169], v[196:197], v[168:169]
	v_add_f64 v[170:171], v[198:199], v[170:171]
	v_fma_f64 v[188:189], v[104:105], s[34:35], -v[152:153]
	v_fma_f64 v[190:191], v[106:107], s[34:35], v[154:155]
	v_fma_f64 v[152:153], v[104:105], s[34:35], v[152:153]
	v_fma_f64 v[154:155], v[106:107], s[34:35], -v[154:155]
	v_add_f64 v[136:137], v[136:137], v[160:161]
	v_add_f64 v[138:139], v[138:139], v[162:163]
	v_fma_f64 v[160:161], v[104:105], s[26:27], -v[172:173]
	v_fma_f64 v[162:163], v[106:107], s[26:27], v[174:175]
	v_fma_f64 v[172:173], v[104:105], s[26:27], v[172:173]
	v_fma_f64 v[174:175], v[106:107], s[26:27], -v[174:175]
	v_add_f64 v[152:153], v[152:153], v[156:157]
	v_add_f64 v[154:155], v[154:155], v[158:159]
	v_mul_f64 v[156:157], v[180:181], s[50:51]
	v_mul_f64 v[158:159], v[182:183], s[50:51]
	v_add_f64 v[160:161], v[160:161], v[176:177]
	v_add_f64 v[162:163], v[162:163], v[178:179]
	v_add_f64 v[176:177], v[98:99], -v[102:103]
	v_add_f64 v[178:179], v[96:97], -v[100:101]
	v_add_f64 v[96:97], v[96:97], v[100:101]
	v_add_f64 v[98:99], v[98:99], v[102:103]
	v_fma_f64 v[180:181], v[104:105], s[18:19], -v[156:157]
	v_fma_f64 v[182:183], v[106:107], s[18:19], v[158:159]
	v_fma_f64 v[104:105], v[104:105], s[18:19], v[156:157]
	v_fma_f64 v[106:107], v[106:107], s[18:19], -v[158:159]
	v_mul_f64 v[100:101], v[176:177], s[22:23]
	v_mul_f64 v[102:103], v[178:179], s[22:23]
	v_add_f64 v[144:145], v[172:173], v[144:145]
	v_add_f64 v[146:147], v[174:175], v[146:147]
	;; [unrolled: 1-line block ×6, first 2 shown]
	v_fma_f64 v[172:173], v[96:97], s[20:21], -v[100:101]
	v_fma_f64 v[174:175], v[98:99], s[20:21], v[102:103]
	v_mul_f64 v[112:113], v[176:177], s[58:59]
	v_mul_f64 v[114:115], v[178:179], s[58:59]
	v_fma_f64 v[100:101], v[96:97], s[20:21], v[100:101]
	v_fma_f64 v[102:103], v[98:99], s[20:21], -v[102:103]
	v_add_f64 v[168:169], v[188:189], v[168:169]
	v_add_f64 v[170:171], v[190:191], v[170:171]
	;; [unrolled: 1-line block ×4, first 2 shown]
	v_mul_f64 v[172:173], v[176:177], s[50:51]
	v_mul_f64 v[174:175], v[178:179], s[50:51]
	v_fma_f64 v[180:181], v[96:97], s[34:35], -v[112:113]
	v_fma_f64 v[182:183], v[98:99], s[34:35], v[114:115]
	v_add_f64 v[100:101], v[100:101], v[108:109]
	v_add_f64 v[102:103], v[102:103], v[110:111]
	v_fma_f64 v[108:109], v[96:97], s[34:35], v[112:113]
	v_fma_f64 v[110:111], v[98:99], s[34:35], -v[114:115]
	v_fma_f64 v[112:113], v[96:97], s[18:19], -v[172:173]
	v_fma_f64 v[114:115], v[98:99], s[18:19], v[174:175]
	v_add_f64 v[132:133], v[180:181], v[132:133]
	v_add_f64 v[134:135], v[182:183], v[134:135]
	v_mul_f64 v[180:181], v[176:177], s[2:3]
	v_mul_f64 v[182:183], v[178:179], s[2:3]
	v_add_f64 v[108:109], v[108:109], v[120:121]
	v_add_f64 v[110:111], v[110:111], v[122:123]
	;; [unrolled: 1-line block ×4, first 2 shown]
	v_fma_f64 v[120:121], v[96:97], s[18:19], v[172:173]
	v_fma_f64 v[122:123], v[98:99], s[18:19], -v[174:175]
	v_fma_f64 v[128:129], v[96:97], s[16:17], -v[180:181]
	v_fma_f64 v[130:131], v[98:99], s[16:17], v[182:183]
	v_mul_f64 v[172:173], v[176:177], s[38:39]
	v_mul_f64 v[174:175], v[178:179], s[38:39]
	v_fma_f64 v[180:181], v[96:97], s[16:17], v[180:181]
	v_fma_f64 v[182:183], v[98:99], s[16:17], -v[182:183]
	v_add_f64 v[120:121], v[120:121], v[148:149]
	v_add_f64 v[122:123], v[122:123], v[150:151]
	;; [unrolled: 1-line block ×4, first 2 shown]
	v_mul_f64 v[164:165], v[176:177], s[52:53]
	v_mul_f64 v[166:167], v[178:179], s[52:53]
	v_fma_f64 v[148:149], v[96:97], s[40:41], -v[172:173]
	v_fma_f64 v[150:151], v[98:99], s[40:41], v[174:175]
	v_add_f64 v[124:125], v[180:181], v[124:125]
	v_add_f64 v[126:127], v[182:183], v[126:127]
	v_fma_f64 v[172:173], v[96:97], s[40:41], v[172:173]
	v_fma_f64 v[174:175], v[98:99], s[40:41], -v[174:175]
	v_fma_f64 v[180:181], v[96:97], s[6:7], -v[164:165]
	v_fma_f64 v[182:183], v[98:99], s[6:7], v[166:167]
	v_fma_f64 v[164:165], v[96:97], s[6:7], v[164:165]
	v_fma_f64 v[166:167], v[98:99], s[6:7], -v[166:167]
	v_add_f64 v[140:141], v[148:149], v[140:141]
	v_add_f64 v[142:143], v[150:151], v[142:143]
	v_mul_f64 v[148:149], v[176:177], s[30:31]
	v_mul_f64 v[150:151], v[178:179], s[30:31]
	v_add_f64 v[136:137], v[172:173], v[136:137]
	v_add_f64 v[138:139], v[174:175], v[138:139]
	v_add_f64 v[152:153], v[164:165], v[152:153]
	v_add_f64 v[154:155], v[166:167], v[154:155]
	v_add_f64 v[164:165], v[90:91], -v[94:95]
	v_add_f64 v[166:167], v[88:89], -v[92:93]
	v_fma_f64 v[184:185], v[96:97], s[24:25], -v[148:149]
	v_fma_f64 v[186:187], v[98:99], s[24:25], v[150:151]
	v_mul_f64 v[172:173], v[176:177], s[28:29]
	v_mul_f64 v[174:175], v[178:179], s[28:29]
	v_fma_f64 v[148:149], v[96:97], s[24:25], v[148:149]
	v_fma_f64 v[150:151], v[98:99], s[24:25], -v[150:151]
	v_add_f64 v[88:89], v[88:89], v[92:93]
	v_add_f64 v[90:91], v[90:91], v[94:95]
	v_mul_f64 v[92:93], v[164:165], s[28:29]
	v_mul_f64 v[94:95], v[166:167], s[28:29]
	v_fma_f64 v[176:177], v[96:97], s[26:27], -v[172:173]
	v_fma_f64 v[178:179], v[98:99], s[26:27], v[174:175]
	v_fma_f64 v[96:97], v[96:97], s[26:27], v[172:173]
	v_fma_f64 v[98:99], v[98:99], s[26:27], -v[174:175]
	v_add_f64 v[144:145], v[148:149], v[144:145]
	v_add_f64 v[146:147], v[150:151], v[146:147]
	v_fma_f64 v[148:149], v[88:89], s[26:27], -v[92:93]
	v_fma_f64 v[150:151], v[90:91], s[26:27], v[94:95]
	v_fma_f64 v[92:93], v[88:89], s[26:27], v[92:93]
	v_fma_f64 v[94:95], v[90:91], s[26:27], -v[94:95]
	v_add_f64 v[96:97], v[96:97], v[104:105]
	v_add_f64 v[98:99], v[98:99], v[106:107]
	v_mul_f64 v[104:105], v[164:165], s[54:55]
	v_mul_f64 v[106:107], v[166:167], s[54:55]
	v_add_f64 v[116:117], v[148:149], v[116:117]
	v_add_f64 v[118:119], v[150:151], v[118:119]
	v_mul_f64 v[148:149], v[164:165], s[30:31]
	v_mul_f64 v[150:151], v[166:167], s[30:31]
	v_add_f64 v[92:93], v[92:93], v[100:101]
	v_add_f64 v[94:95], v[94:95], v[102:103]
	v_fma_f64 v[172:173], v[88:89], s[20:21], -v[104:105]
	v_fma_f64 v[174:175], v[90:91], s[20:21], v[106:107]
	v_fma_f64 v[104:105], v[88:89], s[20:21], v[104:105]
	v_fma_f64 v[106:107], v[90:91], s[20:21], -v[106:107]
	v_fma_f64 v[100:101], v[88:89], s[24:25], -v[148:149]
	v_fma_f64 v[102:103], v[90:91], s[24:25], v[150:151]
	v_add_f64 v[160:161], v[184:185], v[160:161]
	v_add_f64 v[162:163], v[186:187], v[162:163]
	;; [unrolled: 1-line block ×6, first 2 shown]
	v_mul_f64 v[108:109], v[164:165], s[36:37]
	v_mul_f64 v[110:111], v[166:167], s[36:37]
	v_add_f64 v[100:101], v[100:101], v[112:113]
	v_add_f64 v[102:103], v[102:103], v[114:115]
	v_fma_f64 v[112:113], v[88:89], s[24:25], v[148:149]
	v_fma_f64 v[114:115], v[90:91], s[24:25], -v[150:151]
	v_mul_f64 v[148:149], v[164:165], s[52:53]
	v_mul_f64 v[150:151], v[166:167], s[52:53]
	v_fma_f64 v[172:173], v[88:89], s[34:35], -v[108:109]
	v_fma_f64 v[174:175], v[90:91], s[34:35], v[110:111]
	v_fma_f64 v[108:109], v[88:89], s[34:35], v[108:109]
	v_fma_f64 v[110:111], v[90:91], s[34:35], -v[110:111]
	v_add_f64 v[112:113], v[112:113], v[120:121]
	v_add_f64 v[114:115], v[114:115], v[122:123]
	v_fma_f64 v[120:121], v[88:89], s[6:7], -v[148:149]
	v_fma_f64 v[122:123], v[90:91], s[6:7], v[150:151]
	v_add_f64 v[156:157], v[176:177], v[156:157]
	v_add_f64 v[158:159], v[178:179], v[158:159]
	;; [unrolled: 1-line block ×4, first 2 shown]
	v_mul_f64 v[124:125], v[164:165], s[46:47]
	v_mul_f64 v[126:127], v[166:167], s[46:47]
	v_add_f64 v[120:121], v[120:121], v[140:141]
	v_add_f64 v[122:123], v[122:123], v[142:143]
	v_mul_f64 v[140:141], v[164:165], s[38:39]
	v_mul_f64 v[142:143], v[166:167], s[38:39]
	v_add_f64 v[128:129], v[172:173], v[128:129]
	v_add_f64 v[130:131], v[174:175], v[130:131]
	v_fma_f64 v[172:173], v[88:89], s[18:19], -v[124:125]
	v_fma_f64 v[174:175], v[90:91], s[18:19], v[126:127]
	v_fma_f64 v[124:125], v[88:89], s[18:19], v[124:125]
	v_fma_f64 v[126:127], v[90:91], s[18:19], -v[126:127]
	v_fma_f64 v[176:177], v[88:89], s[40:41], -v[140:141]
	v_fma_f64 v[178:179], v[90:91], s[40:41], v[142:143]
	v_add_f64 v[168:169], v[180:181], v[168:169]
	v_add_f64 v[170:171], v[182:183], v[170:171]
	v_fma_f64 v[148:149], v[88:89], s[6:7], v[148:149]
	v_fma_f64 v[150:151], v[90:91], s[6:7], -v[150:151]
	v_add_f64 v[124:125], v[124:125], v[152:153]
	v_add_f64 v[126:127], v[126:127], v[154:155]
	v_add_f64 v[152:153], v[176:177], v[160:161]
	v_add_f64 v[154:155], v[178:179], v[162:163]
	v_add_f64 v[160:161], v[82:83], -v[86:87]
	v_add_f64 v[162:163], v[80:81], -v[84:85]
	v_mul_f64 v[164:165], v[164:165], s[44:45]
	v_mul_f64 v[166:167], v[166:167], s[44:45]
	v_fma_f64 v[140:141], v[88:89], s[40:41], v[140:141]
	v_fma_f64 v[142:143], v[90:91], s[40:41], -v[142:143]
	v_add_f64 v[80:81], v[80:81], v[84:85]
	v_add_f64 v[82:83], v[82:83], v[86:87]
	v_mul_f64 v[84:85], v[160:161], s[36:37]
	v_mul_f64 v[86:87], v[162:163], s[36:37]
	v_add_f64 v[136:137], v[148:149], v[136:137]
	v_add_f64 v[138:139], v[150:151], v[138:139]
	;; [unrolled: 1-line block ×4, first 2 shown]
	v_fma_f64 v[168:169], v[88:89], s[16:17], -v[164:165]
	v_fma_f64 v[170:171], v[90:91], s[16:17], v[166:167]
	v_fma_f64 v[88:89], v[88:89], s[16:17], v[164:165]
	v_fma_f64 v[90:91], v[90:91], s[16:17], -v[166:167]
	v_add_f64 v[140:141], v[140:141], v[144:145]
	v_add_f64 v[142:143], v[142:143], v[146:147]
	v_fma_f64 v[144:145], v[80:81], s[34:35], -v[84:85]
	v_fma_f64 v[146:147], v[82:83], s[34:35], v[86:87]
	v_fma_f64 v[84:85], v[80:81], s[34:35], v[84:85]
	v_fma_f64 v[86:87], v[82:83], s[34:35], -v[86:87]
	v_add_f64 v[88:89], v[88:89], v[96:97]
	v_add_f64 v[90:91], v[90:91], v[98:99]
	v_mul_f64 v[96:97], v[160:161], s[44:45]
	v_mul_f64 v[98:99], v[162:163], s[44:45]
	v_add_f64 v[116:117], v[144:145], v[116:117]
	v_add_f64 v[118:119], v[146:147], v[118:119]
	v_mul_f64 v[144:145], v[160:161], s[42:43]
	v_mul_f64 v[146:147], v[162:163], s[42:43]
	v_add_f64 v[84:85], v[84:85], v[92:93]
	v_add_f64 v[86:87], v[86:87], v[94:95]
	v_fma_f64 v[164:165], v[80:81], s[16:17], -v[96:97]
	v_fma_f64 v[166:167], v[82:83], s[16:17], v[98:99]
	v_fma_f64 v[96:97], v[80:81], s[16:17], v[96:97]
	v_fma_f64 v[98:99], v[82:83], s[16:17], -v[98:99]
	v_fma_f64 v[92:93], v[80:81], s[6:7], -v[144:145]
	v_fma_f64 v[94:95], v[82:83], s[6:7], v[146:147]
	v_add_f64 v[156:157], v[168:169], v[156:157]
	v_add_f64 v[158:159], v[170:171], v[158:159]
	;; [unrolled: 1-line block ×6, first 2 shown]
	v_mul_f64 v[104:105], v[160:161], s[56:57]
	v_mul_f64 v[106:107], v[162:163], s[56:57]
	v_add_f64 v[92:93], v[92:93], v[100:101]
	v_add_f64 v[94:95], v[94:95], v[102:103]
	v_fma_f64 v[100:101], v[80:81], s[6:7], v[144:145]
	v_fma_f64 v[102:103], v[82:83], s[6:7], -v[146:147]
	v_mul_f64 v[144:145], v[160:161], s[30:31]
	v_mul_f64 v[146:147], v[162:163], s[30:31]
	v_fma_f64 v[164:165], v[80:81], s[26:27], -v[104:105]
	v_fma_f64 v[166:167], v[82:83], s[26:27], v[106:107]
	v_fma_f64 v[104:105], v[80:81], s[26:27], v[104:105]
	v_fma_f64 v[106:107], v[82:83], s[26:27], -v[106:107]
	v_add_f64 v[100:101], v[100:101], v[112:113]
	v_add_f64 v[102:103], v[102:103], v[114:115]
	v_fma_f64 v[112:113], v[80:81], s[24:25], -v[144:145]
	v_fma_f64 v[114:115], v[82:83], s[24:25], v[146:147]
	v_add_f64 v[128:129], v[164:165], v[128:129]
	v_add_f64 v[130:131], v[166:167], v[130:131]
	;; [unrolled: 1-line block ×4, first 2 shown]
	v_mul_f64 v[108:109], v[160:161], s[38:39]
	v_mul_f64 v[110:111], v[162:163], s[38:39]
	v_add_f64 v[112:113], v[112:113], v[120:121]
	v_add_f64 v[114:115], v[114:115], v[122:123]
	v_fma_f64 v[120:121], v[80:81], s[24:25], v[144:145]
	v_fma_f64 v[122:123], v[82:83], s[24:25], -v[146:147]
	v_mul_f64 v[144:145], v[160:161], s[50:51]
	v_mul_f64 v[146:147], v[162:163], s[50:51]
	v_fma_f64 v[164:165], v[80:81], s[40:41], -v[108:109]
	v_fma_f64 v[166:167], v[82:83], s[40:41], v[110:111]
	v_fma_f64 v[108:109], v[80:81], s[40:41], v[108:109]
	v_fma_f64 v[110:111], v[82:83], s[40:41], -v[110:111]
	v_add_f64 v[120:121], v[120:121], v[136:137]
	v_add_f64 v[122:123], v[122:123], v[138:139]
	v_fma_f64 v[136:137], v[80:81], s[18:19], -v[144:145]
	v_fma_f64 v[138:139], v[82:83], s[18:19], v[146:147]
	v_add_f64 v[148:149], v[164:165], v[148:149]
	v_add_f64 v[150:151], v[166:167], v[150:151]
	;; [unrolled: 1-line block ×4, first 2 shown]
	v_mul_f64 v[108:109], v[160:161], s[22:23]
	v_mul_f64 v[110:111], v[162:163], s[22:23]
	v_add_f64 v[136:137], v[136:137], v[152:153]
	v_add_f64 v[138:139], v[138:139], v[154:155]
	v_add_f64 v[152:153], v[74:75], -v[78:79]
	v_add_f64 v[154:155], v[72:73], -v[76:77]
	v_fma_f64 v[144:145], v[80:81], s[18:19], v[144:145]
	v_fma_f64 v[146:147], v[82:83], s[18:19], -v[146:147]
	v_fma_f64 v[160:161], v[80:81], s[20:21], -v[108:109]
	v_fma_f64 v[162:163], v[82:83], s[20:21], v[110:111]
	v_add_f64 v[164:165], v[72:73], v[76:77]
	v_add_f64 v[166:167], v[74:75], v[78:79]
	v_mul_f64 v[72:73], v[152:153], s[38:39]
	v_mul_f64 v[74:75], v[154:155], s[38:39]
	v_fma_f64 v[76:77], v[80:81], s[20:21], v[108:109]
	v_fma_f64 v[78:79], v[82:83], s[20:21], -v[110:111]
	v_add_f64 v[140:141], v[144:145], v[140:141]
	v_add_f64 v[142:143], v[146:147], v[142:143]
	;; [unrolled: 1-line block ×4, first 2 shown]
	v_fma_f64 v[80:81], v[164:165], s[40:41], -v[72:73]
	v_fma_f64 v[82:83], v[166:167], s[40:41], v[74:75]
	v_mul_f64 v[108:109], v[152:153], s[48:49]
	v_mul_f64 v[110:111], v[154:155], s[48:49]
	v_fma_f64 v[156:157], v[164:165], s[40:41], v[72:73]
	v_fma_f64 v[158:159], v[166:167], s[40:41], -v[74:75]
	v_add_f64 v[160:161], v[76:77], v[88:89]
	v_add_f64 v[162:163], v[78:79], v[90:91]
	v_mul_f64 v[88:89], v[152:153], s[36:37]
	v_mul_f64 v[90:91], v[154:155], s[36:37]
	v_add_f64 v[72:73], v[80:81], v[116:117]
	v_add_f64 v[74:75], v[82:83], v[118:119]
	v_fma_f64 v[80:81], v[164:165], s[24:25], -v[108:109]
	v_fma_f64 v[82:83], v[166:167], s[24:25], v[110:111]
	v_add_f64 v[76:77], v[156:157], v[84:85]
	v_add_f64 v[78:79], v[158:159], v[86:87]
	v_fma_f64 v[84:85], v[164:165], s[24:25], v[108:109]
	v_fma_f64 v[86:87], v[166:167], s[24:25], -v[110:111]
	v_mul_f64 v[108:109], v[152:153], s[50:51]
	v_mul_f64 v[110:111], v[154:155], s[50:51]
	v_fma_f64 v[116:117], v[164:165], s[34:35], -v[88:89]
	v_fma_f64 v[118:119], v[166:167], s[34:35], v[90:91]
	v_add_f64 v[80:81], v[80:81], v[132:133]
	v_add_f64 v[82:83], v[82:83], v[134:135]
	;; [unrolled: 1-line block ×4, first 2 shown]
	v_fma_f64 v[96:97], v[164:165], s[34:35], v[88:89]
	v_fma_f64 v[98:99], v[166:167], s[34:35], -v[90:91]
	v_fma_f64 v[132:133], v[164:165], s[18:19], -v[108:109]
	v_fma_f64 v[134:135], v[166:167], s[18:19], v[110:111]
	v_add_f64 v[88:89], v[116:117], v[92:93]
	v_add_f64 v[90:91], v[118:119], v[94:95]
	v_mul_f64 v[116:117], v[152:153], s[28:29]
	v_mul_f64 v[118:119], v[154:155], s[28:29]
	v_add_f64 v[92:93], v[96:97], v[100:101]
	v_add_f64 v[94:95], v[98:99], v[102:103]
	;; [unrolled: 1-line block ×4, first 2 shown]
	v_fma_f64 v[100:101], v[164:165], s[18:19], v[108:109]
	v_fma_f64 v[102:103], v[166:167], s[18:19], -v[110:111]
	v_fma_f64 v[108:109], v[164:165], s[26:27], -v[116:117]
	v_fma_f64 v[110:111], v[166:167], s[26:27], v[118:119]
	v_mul_f64 v[128:129], v[152:153], s[44:45]
	v_mul_f64 v[130:131], v[154:155], s[44:45]
	v_fma_f64 v[116:117], v[164:165], s[26:27], v[116:117]
	v_fma_f64 v[118:119], v[166:167], s[26:27], -v[118:119]
	v_add_f64 v[100:101], v[100:101], v[104:105]
	v_add_f64 v[102:103], v[102:103], v[106:107]
	;; [unrolled: 1-line block ×4, first 2 shown]
	v_fma_f64 v[112:113], v[164:165], s[16:17], -v[128:129]
	v_fma_f64 v[114:115], v[166:167], s[16:17], v[130:131]
	v_add_f64 v[108:109], v[116:117], v[120:121]
	v_add_f64 v[110:111], v[118:119], v[122:123]
	v_fma_f64 v[116:117], v[164:165], s[16:17], v[128:129]
	v_fma_f64 v[118:119], v[166:167], s[16:17], -v[130:131]
	v_mul_f64 v[120:121], v[152:153], s[22:23]
	v_mul_f64 v[122:123], v[154:155], s[22:23]
	;; [unrolled: 1-line block ×4, first 2 shown]
	v_add_f64 v[112:113], v[112:113], v[148:149]
	v_add_f64 v[114:115], v[114:115], v[150:151]
	;; [unrolled: 1-line block ×4, first 2 shown]
	v_fma_f64 v[124:125], v[164:165], s[20:21], -v[120:121]
	v_fma_f64 v[126:127], v[166:167], s[20:21], v[122:123]
	v_fma_f64 v[132:133], v[164:165], s[20:21], v[120:121]
	v_fma_f64 v[134:135], v[166:167], s[20:21], -v[122:123]
	v_fma_f64 v[148:149], v[164:165], s[6:7], -v[128:129]
	v_fma_f64 v[150:151], v[166:167], s[6:7], v[130:131]
	v_fma_f64 v[152:153], v[164:165], s[6:7], v[128:129]
	v_fma_f64 v[154:155], v[166:167], s[6:7], -v[130:131]
	v_add_f64 v[120:121], v[124:125], v[136:137]
	v_add_f64 v[122:123], v[126:127], v[138:139]
	v_cmp_gt_u16_e32 vcc, 17, v237
	v_add_f64 v[124:125], v[132:133], v[140:141]
	v_add_f64 v[126:127], v[134:135], v[142:143]
	;; [unrolled: 1-line block ×6, first 2 shown]
	ds_write_b128 v243, v[68:71]
	ds_write_b128 v243, v[72:75] offset:16
	ds_write_b128 v243, v[80:83] offset:32
	;; [unrolled: 1-line block ×16, first 2 shown]
	v_cndmask_b32_e64 v73, v209, 0, vcc
	v_cndmask_b32_e32 v72, v208, v237, vcc
	v_lshlrev_b64 v[68:69], 8, v[72:73]
	s_waitcnt lgkmcnt(0)
	v_add_co_u32_e64 v89, s[0:1], s14, v68
	v_addc_co_u32_e64 v90, s[0:1], v0, v69, s[0:1]
	s_barrier
	global_load_dwordx4 v[120:123], v[89:90], off
	global_load_dwordx4 v[116:119], v[89:90], off offset:16
	global_load_dwordx4 v[112:115], v[89:90], off offset:32
	;; [unrolled: 1-line block ×9, first 2 shown]
	ds_read_b128 v[68:71], v238 offset:544
	ds_read_b128 v[73:76], v238 offset:1088
	global_load_dwordx4 v[140:143], v[89:90], off offset:160
	global_load_dwordx4 v[152:155], v[89:90], off offset:176
	ds_read_b128 v[77:80], v238 offset:1632
	ds_read_b128 v[172:175], v238
	ds_read_b128 v[81:84], v238 offset:2176
	ds_read_b128 v[85:88], v238 offset:2720
	global_load_dwordx4 v[156:159], v[89:90], off offset:208
	global_load_dwordx4 v[160:163], v[89:90], off offset:192
	;; [unrolled: 1-line block ×4, first 2 shown]
	ds_read_b128 v[101:104], v238 offset:5984
	v_cmp_lt_u16_e64 s[0:1], 16, v237
	s_waitcnt vmcnt(15) lgkmcnt(6)
	v_mul_f64 v[91:92], v[70:71], v[122:123]
	v_mul_f64 v[93:94], v[68:69], v[122:123]
	s_waitcnt vmcnt(14) lgkmcnt(5)
	v_mul_f64 v[95:96], v[75:76], v[118:119]
	v_mul_f64 v[97:98], v[73:74], v[118:119]
	v_fma_f64 v[105:106], v[68:69], v[120:121], -v[91:92]
	v_fma_f64 v[188:189], v[70:71], v[120:121], v[93:94]
	v_fma_f64 v[190:191], v[73:74], v[116:117], -v[95:96]
	v_fma_f64 v[192:193], v[75:76], v[116:117], v[97:98]
	s_waitcnt vmcnt(13) lgkmcnt(4)
	v_mul_f64 v[70:71], v[77:78], v[114:115]
	s_waitcnt vmcnt(12) lgkmcnt(2)
	v_mul_f64 v[73:74], v[83:84], v[110:111]
	v_mul_f64 v[68:69], v[79:80], v[114:115]
	;; [unrolled: 1-line block ×3, first 2 shown]
	v_add_f64 v[75:76], v[172:173], v[105:106]
	v_add_f64 v[91:92], v[174:175], v[188:189]
	s_waitcnt vmcnt(5) lgkmcnt(0)
	v_mul_f64 v[182:183], v[101:102], v[142:143]
	v_mul_f64 v[180:181], v[103:104], v[142:143]
	v_fma_f64 v[196:197], v[79:80], v[112:113], v[70:71]
	v_fma_f64 v[198:199], v[81:82], v[108:109], -v[73:74]
	v_fma_f64 v[194:195], v[77:78], v[112:113], -v[68:69]
	v_fma_f64 v[200:201], v[83:84], v[108:109], v[93:94]
	v_add_f64 v[73:74], v[75:76], v[190:191]
	v_add_f64 v[75:76], v[91:92], v[192:193]
	v_mul_f64 v[79:80], v[85:86], v[138:139]
	ds_read_b128 v[68:71], v238 offset:3264
	v_mul_f64 v[77:78], v[87:88], v[138:139]
	v_add_f64 v[81:82], v[73:74], v[194:195]
	v_add_f64 v[83:84], v[75:76], v[196:197]
	ds_read_b128 v[73:76], v238 offset:3808
	s_waitcnt lgkmcnt(1)
	v_mul_f64 v[89:90], v[70:71], v[134:135]
	v_mul_f64 v[93:94], v[68:69], v[134:135]
	v_fma_f64 v[97:98], v[87:88], v[136:137], v[79:80]
	v_fma_f64 v[99:100], v[85:86], v[136:137], -v[77:78]
	v_add_f64 v[77:78], v[81:82], v[198:199]
	v_add_f64 v[79:80], v[83:84], v[200:201]
	s_waitcnt lgkmcnt(0)
	v_mul_f64 v[83:84], v[73:74], v[130:131]
	v_fma_f64 v[91:92], v[68:69], v[132:133], -v[89:90]
	v_fma_f64 v[89:90], v[70:71], v[132:133], v[93:94]
	ds_read_b128 v[68:71], v238 offset:4352
	v_mul_f64 v[81:82], v[75:76], v[130:131]
	v_add_f64 v[85:86], v[77:78], v[99:100]
	v_add_f64 v[87:88], v[79:80], v[97:98]
	ds_read_b128 v[77:80], v238 offset:4896
	s_waitcnt lgkmcnt(1)
	v_mul_f64 v[95:96], v[68:69], v[126:127]
	v_fma_f64 v[83:84], v[75:76], v[128:129], v[83:84]
	v_mul_f64 v[93:94], v[70:71], v[126:127]
	v_fma_f64 v[81:82], v[73:74], v[128:129], -v[81:82]
	v_add_f64 v[85:86], v[85:86], v[91:92]
	v_add_f64 v[87:88], v[87:88], v[89:90]
	v_fma_f64 v[75:76], v[70:71], v[124:125], v[95:96]
	s_waitcnt lgkmcnt(0)
	v_mul_f64 v[95:96], v[77:78], v[150:151]
	v_fma_f64 v[73:74], v[68:69], v[124:125], -v[93:94]
	ds_read_b128 v[68:71], v238 offset:5440
	v_mul_f64 v[93:94], v[79:80], v[150:151]
	v_add_f64 v[85:86], v[85:86], v[81:82]
	v_add_f64 v[87:88], v[87:88], v[83:84]
	s_waitcnt lgkmcnt(0)
	v_mul_f64 v[178:179], v[68:69], v[146:147]
	v_fma_f64 v[79:80], v[79:80], v[148:149], v[95:96]
	v_mul_f64 v[176:177], v[70:71], v[146:147]
	v_fma_f64 v[77:78], v[77:78], v[148:149], -v[93:94]
	v_add_f64 v[93:94], v[85:86], v[73:74]
	v_add_f64 v[95:96], v[87:88], v[75:76]
	v_fma_f64 v[87:88], v[70:71], v[144:145], v[178:179]
	v_fma_f64 v[85:86], v[68:69], v[144:145], -v[176:177]
	ds_read_b128 v[68:71], v238 offset:6528
	ds_read_b128 v[176:179], v238 offset:7072
	v_add_f64 v[184:185], v[93:94], v[77:78]
	v_add_f64 v[186:187], v[95:96], v[79:80]
	v_fma_f64 v[93:94], v[103:104], v[140:141], v[182:183]
	s_waitcnt vmcnt(4) lgkmcnt(1)
	v_mul_f64 v[204:205], v[68:69], v[154:155]
	v_mul_f64 v[202:203], v[70:71], v[154:155]
	v_fma_f64 v[95:96], v[101:102], v[140:141], -v[180:181]
	v_add_f64 v[206:207], v[184:185], v[85:86]
	v_add_f64 v[211:212], v[186:187], v[87:88]
	ds_read_b128 v[180:183], v238 offset:7616
	ds_read_b128 v[184:187], v238 offset:8160
	v_fma_f64 v[101:102], v[70:71], v[152:153], v[204:205]
	s_waitcnt vmcnt(2) lgkmcnt(2)
	v_mul_f64 v[204:205], v[176:177], v[162:163]
	v_fma_f64 v[103:104], v[68:69], v[152:153], -v[202:203]
	v_mul_f64 v[202:203], v[178:179], v[162:163]
	s_waitcnt lgkmcnt(1)
	v_mul_f64 v[215:216], v[180:181], v[158:159]
	v_add_f64 v[206:207], v[206:207], v[95:96]
	v_add_f64 v[211:212], v[211:212], v[93:94]
	ds_read_b128 v[68:71], v238 offset:8704
	v_mul_f64 v[213:214], v[182:183], v[158:159]
	v_fma_f64 v[178:179], v[178:179], v[160:161], v[204:205]
	s_waitcnt lgkmcnt(0)
	v_fma_f64 v[176:177], v[176:177], v[160:161], -v[202:203]
	v_fma_f64 v[182:183], v[182:183], v[156:157], v[215:216]
	v_add_f64 v[202:203], v[206:207], v[103:104]
	v_add_f64 v[204:205], v[211:212], v[101:102]
	s_waitcnt vmcnt(1)
	v_mul_f64 v[206:207], v[68:69], v[166:167]
	v_mul_f64 v[211:212], v[70:71], v[166:167]
	s_waitcnt vmcnt(0)
	v_mul_f64 v[215:216], v[184:185], v[170:171]
	v_fma_f64 v[180:181], v[180:181], v[156:157], -v[213:214]
	v_mul_f64 v[213:214], v[186:187], v[170:171]
	s_barrier
	v_add_f64 v[202:203], v[202:203], v[176:177]
	v_add_f64 v[204:205], v[204:205], v[178:179]
	v_fma_f64 v[70:71], v[70:71], v[164:165], v[206:207]
	v_fma_f64 v[68:69], v[68:69], v[164:165], -v[211:212]
	v_fma_f64 v[186:187], v[186:187], v[168:169], v[215:216]
	v_fma_f64 v[184:185], v[184:185], v[168:169], -v[213:214]
	v_add_f64 v[202:203], v[202:203], v[180:181]
	v_add_f64 v[204:205], v[204:205], v[182:183]
	v_add_f64 v[206:207], v[188:189], -v[70:71]
	v_add_f64 v[211:212], v[105:106], -v[68:69]
	v_add_f64 v[105:106], v[105:106], v[68:69]
	v_add_f64 v[188:189], v[188:189], v[70:71]
	v_add_f64 v[202:203], v[202:203], v[184:185]
	v_add_f64 v[204:205], v[204:205], v[186:187]
	v_mul_f64 v[213:214], v[206:207], s[30:31]
	v_mul_f64 v[215:216], v[211:212], s[30:31]
	;; [unrolled: 1-line block ×7, first 2 shown]
	v_add_f64 v[70:71], v[204:205], v[70:71]
	v_mul_f64 v[204:205], v[206:207], s[2:3]
	v_mul_f64 v[239:240], v[206:207], s[36:37]
	;; [unrolled: 1-line block ×3, first 2 shown]
	v_add_f64 v[68:69], v[202:203], v[68:69]
	v_fma_f64 v[202:203], v[105:106], s[24:25], -v[213:214]
	v_fma_f64 v[219:220], v[188:189], s[24:25], v[215:216]
	v_fma_f64 v[213:214], v[105:106], s[24:25], v[213:214]
	v_fma_f64 v[221:222], v[105:106], s[18:19], -v[217:218]
	v_fma_f64 v[217:218], v[105:106], s[18:19], v[217:218]
	v_fma_f64 v[227:228], v[105:106], s[16:17], -v[204:205]
	v_mul_f64 v[231:232], v[211:212], s[2:3]
	v_fma_f64 v[204:205], v[105:106], s[16:17], v[204:205]
	v_fma_f64 v[241:242], v[105:106], s[6:7], -v[225:226]
	v_fma_f64 v[225:226], v[105:106], s[6:7], v[225:226]
	v_fma_f64 v[244:245], v[105:106], s[20:21], -v[229:230]
	;; [unrolled: 2-line block ×5, first 2 shown]
	v_fma_f64 v[105:106], v[105:106], s[40:41], v[206:207]
	v_fma_f64 v[206:207], v[188:189], s[18:19], v[223:224]
	v_fma_f64 v[223:224], v[188:189], s[18:19], -v[223:224]
	v_mul_f64 v[254:255], v[211:212], s[42:43]
	v_mul_f64 v[0:1], v[211:212], s[22:23]
	;; [unrolled: 1-line block ×5, first 2 shown]
	v_fma_f64 v[215:216], v[188:189], s[24:25], -v[215:216]
	v_fma_f64 v[252:253], v[188:189], s[16:17], v[231:232]
	v_fma_f64 v[231:232], v[188:189], s[16:17], -v[231:232]
	v_fma_f64 v[211:212], v[188:189], s[6:7], v[254:255]
	;; [unrolled: 2-line block ×6, first 2 shown]
	v_fma_f64 v[6:7], v[188:189], s[40:41], -v[6:7]
	v_add_f64 v[188:189], v[172:173], v[202:203]
	v_add_f64 v[202:203], v[174:175], v[219:220]
	;; [unrolled: 1-line block ×18, first 2 shown]
	v_add_f64 v[172:173], v[192:193], -v[186:187]
	v_add_f64 v[215:216], v[174:175], v[215:216]
	v_add_f64 v[206:207], v[174:175], v[206:207]
	;; [unrolled: 1-line block ×16, first 2 shown]
	v_add_f64 v[184:185], v[190:191], -v[184:185]
	v_mul_f64 v[190:191], v[172:173], s[46:47]
	v_fma_f64 v[192:193], v[186:187], s[18:19], -v[190:191]
	v_fma_f64 v[190:191], v[186:187], s[18:19], v[190:191]
	v_add_f64 v[188:189], v[192:193], v[188:189]
	v_mul_f64 v[192:193], v[184:185], s[46:47]
	v_add_f64 v[190:191], v[190:191], v[213:214]
	v_mul_f64 v[213:214], v[172:173], s[42:43]
	v_fma_f64 v[254:255], v[174:175], s[18:19], v[192:193]
	v_fma_f64 v[192:193], v[174:175], s[18:19], -v[192:193]
	v_add_f64 v[202:203], v[254:255], v[202:203]
	v_add_f64 v[192:193], v[192:193], v[215:216]
	v_fma_f64 v[215:216], v[186:187], s[6:7], -v[213:214]
	v_fma_f64 v[213:214], v[186:187], s[6:7], v[213:214]
	v_add_f64 v[215:216], v[215:216], v[219:220]
	v_mul_f64 v[219:220], v[184:185], s[42:43]
	v_add_f64 v[213:214], v[213:214], v[217:218]
	v_fma_f64 v[254:255], v[174:175], s[6:7], v[219:220]
	v_fma_f64 v[217:218], v[174:175], s[6:7], -v[219:220]
	v_mul_f64 v[219:220], v[172:173], s[28:29]
	v_add_f64 v[206:207], v[254:255], v[206:207]
	v_add_f64 v[217:218], v[217:218], v[221:222]
	v_fma_f64 v[221:222], v[186:187], s[26:27], -v[219:220]
	v_fma_f64 v[219:220], v[186:187], s[26:27], v[219:220]
	v_add_f64 v[221:222], v[221:222], v[223:224]
	v_mul_f64 v[223:224], v[184:185], s[28:29]
	v_add_f64 v[204:205], v[219:220], v[204:205]
	v_fma_f64 v[254:255], v[174:175], s[26:27], v[223:224]
	v_fma_f64 v[219:220], v[174:175], s[26:27], -v[223:224]
	v_mul_f64 v[223:224], v[172:173], s[38:39]
	;; [unrolled: 10-line block ×3, first 2 shown]
	v_add_f64 v[211:212], v[254:255], v[211:212]
	v_add_f64 v[225:226], v[225:226], v[252:253]
	v_fma_f64 v[252:253], v[186:187], s[34:35], -v[241:242]
	v_fma_f64 v[241:242], v[186:187], s[34:35], v[241:242]
	v_add_f64 v[244:245], v[252:253], v[244:245]
	v_mul_f64 v[252:253], v[184:185], s[58:59]
	v_add_f64 v[229:230], v[241:242], v[229:230]
	v_fma_f64 v[241:242], v[174:175], s[34:35], -v[252:253]
	v_fma_f64 v[254:255], v[174:175], s[34:35], v[252:253]
	v_add_f64 v[0:1], v[241:242], v[0:1]
	v_mul_f64 v[241:242], v[172:173], s[54:55]
	;; [unrolled: 5-line block ×4, first 2 shown]
	v_mul_f64 v[172:173], v[172:173], s[48:49]
	v_add_f64 v[10:11], v[254:255], v[10:11]
	v_fma_f64 v[252:253], v[186:187], s[16:17], -v[241:242]
	v_fma_f64 v[241:242], v[186:187], s[16:17], v[241:242]
	v_fma_f64 v[254:255], v[186:187], s[24:25], -v[172:173]
	v_fma_f64 v[172:173], v[186:187], s[24:25], v[172:173]
	v_mul_f64 v[186:187], v[184:185], s[44:45]
	v_mul_f64 v[184:185], v[184:185], s[48:49]
	v_add_f64 v[105:106], v[172:173], v[105:106]
	v_fma_f64 v[16:17], v[174:175], s[16:17], v[186:187]
	v_fma_f64 v[18:19], v[174:175], s[16:17], -v[186:187]
	v_fma_f64 v[186:187], v[174:175], s[24:25], v[184:185]
	v_fma_f64 v[174:175], v[174:175], s[24:25], -v[184:185]
	v_add_f64 v[172:173], v[196:197], -v[182:183]
	v_add_f64 v[184:185], v[252:253], v[248:249]
	v_add_f64 v[12:13], v[16:17], v[12:13]
	;; [unrolled: 1-line block ×7, first 2 shown]
	v_mul_f64 v[186:187], v[172:173], s[2:3]
	v_add_f64 v[180:181], v[194:195], -v[180:181]
	v_add_f64 v[4:5], v[18:19], v[4:5]
	v_add_f64 v[18:19], v[254:255], v[250:251]
	v_fma_f64 v[194:195], v[182:183], s[16:17], -v[186:187]
	v_fma_f64 v[186:187], v[182:183], s[16:17], v[186:187]
	v_add_f64 v[188:189], v[194:195], v[188:189]
	v_mul_f64 v[194:195], v[180:181], s[2:3]
	v_add_f64 v[186:187], v[186:187], v[190:191]
	v_fma_f64 v[190:191], v[174:175], s[16:17], -v[194:195]
	v_fma_f64 v[196:197], v[174:175], s[16:17], v[194:195]
	v_add_f64 v[190:191], v[190:191], v[192:193]
	v_mul_f64 v[192:193], v[172:173], s[28:29]
	v_add_f64 v[196:197], v[196:197], v[202:203]
	v_mul_f64 v[202:203], v[180:181], s[28:29]
	v_fma_f64 v[194:195], v[182:183], s[26:27], -v[192:193]
	v_fma_f64 v[192:193], v[182:183], s[26:27], v[192:193]
	v_add_f64 v[194:195], v[194:195], v[215:216]
	v_fma_f64 v[215:216], v[174:175], s[26:27], v[202:203]
	v_add_f64 v[192:193], v[192:193], v[213:214]
	v_fma_f64 v[202:203], v[174:175], s[26:27], -v[202:203]
	v_mul_f64 v[213:214], v[172:173], s[60:61]
	v_add_f64 v[206:207], v[215:216], v[206:207]
	v_add_f64 v[202:203], v[202:203], v[217:218]
	v_fma_f64 v[215:216], v[182:183], s[40:41], -v[213:214]
	v_mul_f64 v[217:218], v[180:181], s[60:61]
	v_fma_f64 v[213:214], v[182:183], s[40:41], v[213:214]
	v_add_f64 v[215:216], v[215:216], v[221:222]
	v_fma_f64 v[221:222], v[174:175], s[40:41], v[217:218]
	v_add_f64 v[204:205], v[213:214], v[204:205]
	v_fma_f64 v[213:214], v[174:175], s[40:41], -v[217:218]
	v_mul_f64 v[217:218], v[172:173], s[54:55]
	v_add_f64 v[221:222], v[221:222], v[227:228]
	v_mul_f64 v[227:228], v[180:181], s[54:55]
	v_add_f64 v[213:214], v[213:214], v[219:220]
	v_fma_f64 v[219:220], v[182:183], s[20:21], -v[217:218]
	v_fma_f64 v[217:218], v[182:183], s[20:21], v[217:218]
	v_add_f64 v[219:220], v[219:220], v[231:232]
	v_add_f64 v[217:218], v[217:218], v[223:224]
	v_fma_f64 v[223:224], v[174:175], s[20:21], -v[227:228]
	v_fma_f64 v[231:232], v[174:175], s[20:21], v[227:228]
	v_add_f64 v[223:224], v[223:224], v[225:226]
	v_mul_f64 v[225:226], v[172:173], s[50:51]
	v_add_f64 v[211:212], v[231:232], v[211:212]
	v_mul_f64 v[231:232], v[180:181], s[50:51]
	v_fma_f64 v[227:228], v[182:183], s[18:19], -v[225:226]
	v_fma_f64 v[225:226], v[182:183], s[18:19], v[225:226]
	v_fma_f64 v[239:240], v[174:175], s[18:19], v[231:232]
	v_add_f64 v[227:228], v[227:228], v[244:245]
	v_add_f64 v[225:226], v[225:226], v[229:230]
	v_fma_f64 v[229:230], v[174:175], s[18:19], -v[231:232]
	v_add_f64 v[8:9], v[239:240], v[8:9]
	v_mul_f64 v[239:240], v[180:181], s[30:31]
	v_add_f64 v[0:1], v[229:230], v[0:1]
	v_mul_f64 v[229:230], v[172:173], s[30:31]
	v_fma_f64 v[241:242], v[174:175], s[24:25], v[239:240]
	v_fma_f64 v[231:232], v[182:183], s[24:25], -v[229:230]
	v_fma_f64 v[229:230], v[182:183], s[24:25], v[229:230]
	v_add_f64 v[10:11], v[241:242], v[10:11]
	v_add_f64 v[231:232], v[231:232], v[246:247]
	;; [unrolled: 1-line block ×3, first 2 shown]
	v_fma_f64 v[233:234], v[174:175], s[24:25], -v[239:240]
	v_add_f64 v[2:3], v[233:234], v[2:3]
	v_mul_f64 v[233:234], v[172:173], s[42:43]
	v_mul_f64 v[172:173], v[172:173], s[36:37]
	v_fma_f64 v[239:240], v[182:183], s[6:7], -v[233:234]
	v_fma_f64 v[233:234], v[182:183], s[6:7], v[233:234]
	v_fma_f64 v[241:242], v[182:183], s[34:35], -v[172:173]
	v_fma_f64 v[172:173], v[182:183], s[34:35], v[172:173]
	v_mul_f64 v[182:183], v[180:181], s[42:43]
	v_mul_f64 v[180:181], v[180:181], s[36:37]
	v_add_f64 v[16:17], v[233:234], v[16:17]
	v_add_f64 v[18:19], v[241:242], v[18:19]
	;; [unrolled: 1-line block ×3, first 2 shown]
	v_fma_f64 v[244:245], v[174:175], s[6:7], v[182:183]
	v_fma_f64 v[182:183], v[174:175], s[6:7], -v[182:183]
	v_fma_f64 v[246:247], v[174:175], s[34:35], v[180:181]
	v_fma_f64 v[174:175], v[174:175], s[34:35], -v[180:181]
	v_add_f64 v[172:173], v[200:201], -v[178:179]
	v_add_f64 v[180:181], v[239:240], v[184:185]
	v_add_f64 v[12:13], v[244:245], v[12:13]
	;; [unrolled: 1-line block ×7, first 2 shown]
	v_mul_f64 v[182:183], v[172:173], s[42:43]
	v_add_f64 v[176:177], v[198:199], -v[176:177]
	v_fma_f64 v[184:185], v[178:179], s[6:7], -v[182:183]
	v_fma_f64 v[182:183], v[178:179], s[6:7], v[182:183]
	v_add_f64 v[184:185], v[184:185], v[188:189]
	v_mul_f64 v[188:189], v[176:177], s[42:43]
	v_add_f64 v[182:183], v[182:183], v[186:187]
	v_fma_f64 v[198:199], v[174:175], s[6:7], v[188:189]
	v_fma_f64 v[186:187], v[174:175], s[6:7], -v[188:189]
	v_mul_f64 v[188:189], v[172:173], s[38:39]
	v_add_f64 v[196:197], v[198:199], v[196:197]
	v_add_f64 v[186:187], v[186:187], v[190:191]
	v_fma_f64 v[190:191], v[178:179], s[40:41], -v[188:189]
	v_fma_f64 v[188:189], v[178:179], s[40:41], v[188:189]
	v_add_f64 v[190:191], v[190:191], v[194:195]
	v_mul_f64 v[194:195], v[176:177], s[38:39]
	v_add_f64 v[188:189], v[188:189], v[192:193]
	v_fma_f64 v[198:199], v[174:175], s[40:41], v[194:195]
	v_fma_f64 v[192:193], v[174:175], s[40:41], -v[194:195]
	v_mul_f64 v[194:195], v[172:173], s[54:55]
	v_add_f64 v[198:199], v[198:199], v[206:207]
	v_add_f64 v[192:193], v[192:193], v[202:203]
	v_fma_f64 v[200:201], v[178:179], s[20:21], -v[194:195]
	v_mul_f64 v[202:203], v[176:177], s[54:55]
	v_fma_f64 v[194:195], v[178:179], s[20:21], v[194:195]
	v_add_f64 v[200:201], v[200:201], v[215:216]
	v_fma_f64 v[206:207], v[174:175], s[20:21], v[202:203]
	v_add_f64 v[194:195], v[194:195], v[204:205]
	v_fma_f64 v[202:203], v[174:175], s[20:21], -v[202:203]
	v_mul_f64 v[204:205], v[172:173], s[48:49]
	v_mul_f64 v[215:216], v[176:177], s[48:49]
	v_add_f64 v[206:207], v[206:207], v[221:222]
	v_mul_f64 v[221:222], v[176:177], s[2:3]
	v_add_f64 v[202:203], v[202:203], v[213:214]
	v_fma_f64 v[213:214], v[178:179], s[24:25], -v[204:205]
	v_fma_f64 v[204:205], v[178:179], s[24:25], v[204:205]
	v_add_f64 v[213:214], v[213:214], v[219:220]
	v_fma_f64 v[219:220], v[174:175], s[24:25], v[215:216]
	v_add_f64 v[204:205], v[204:205], v[217:218]
	v_mul_f64 v[217:218], v[172:173], s[2:3]
	v_fma_f64 v[215:216], v[174:175], s[24:25], -v[215:216]
	v_add_f64 v[211:212], v[219:220], v[211:212]
	v_fma_f64 v[219:220], v[178:179], s[16:17], -v[217:218]
	v_fma_f64 v[217:218], v[178:179], s[16:17], v[217:218]
	v_add_f64 v[215:216], v[215:216], v[223:224]
	v_fma_f64 v[223:224], v[174:175], s[16:17], v[221:222]
	v_fma_f64 v[221:222], v[174:175], s[16:17], -v[221:222]
	v_add_f64 v[219:220], v[219:220], v[227:228]
	v_add_f64 v[217:218], v[217:218], v[225:226]
	v_mul_f64 v[225:226], v[176:177], s[36:37]
	v_add_f64 v[8:9], v[223:224], v[8:9]
	v_add_f64 v[0:1], v[221:222], v[0:1]
	v_mul_f64 v[221:222], v[172:173], s[36:37]
	v_fma_f64 v[227:228], v[174:175], s[34:35], v[225:226]
	v_fma_f64 v[225:226], v[174:175], s[34:35], -v[225:226]
	v_fma_f64 v[223:224], v[178:179], s[34:35], -v[221:222]
	v_fma_f64 v[221:222], v[178:179], s[34:35], v[221:222]
	v_add_f64 v[10:11], v[227:228], v[10:11]
	v_add_f64 v[2:3], v[225:226], v[2:3]
	v_mul_f64 v[225:226], v[172:173], s[56:57]
	v_mul_f64 v[172:173], v[172:173], s[50:51]
	v_add_f64 v[221:222], v[221:222], v[229:230]
	v_add_f64 v[223:224], v[223:224], v[231:232]
	v_fma_f64 v[227:228], v[178:179], s[26:27], -v[225:226]
	v_fma_f64 v[225:226], v[178:179], s[26:27], v[225:226]
	v_add_f64 v[180:181], v[227:228], v[180:181]
	v_mul_f64 v[227:228], v[176:177], s[56:57]
	v_add_f64 v[16:17], v[225:226], v[16:17]
	v_mul_f64 v[176:177], v[176:177], s[50:51]
	v_fma_f64 v[225:226], v[174:175], s[26:27], -v[227:228]
	v_fma_f64 v[229:230], v[174:175], s[26:27], v[227:228]
	v_add_f64 v[4:5], v[225:226], v[4:5]
	v_fma_f64 v[225:226], v[178:179], s[18:19], -v[172:173]
	v_fma_f64 v[172:173], v[178:179], s[18:19], v[172:173]
	v_add_f64 v[178:179], v[99:100], -v[103:104]
	v_add_f64 v[99:100], v[99:100], v[103:104]
	v_add_f64 v[12:13], v[229:230], v[12:13]
	;; [unrolled: 1-line block ×3, first 2 shown]
	v_fma_f64 v[225:226], v[174:175], s[18:19], v[176:177]
	v_fma_f64 v[174:175], v[174:175], s[18:19], -v[176:177]
	v_add_f64 v[176:177], v[97:98], -v[101:102]
	v_add_f64 v[97:98], v[97:98], v[101:102]
	v_mul_f64 v[103:104], v[178:179], s[22:23]
	v_add_f64 v[105:106], v[172:173], v[105:106]
	v_add_f64 v[14:15], v[225:226], v[14:15]
	;; [unrolled: 1-line block ×3, first 2 shown]
	v_mul_f64 v[101:102], v[176:177], s[22:23]
	v_mul_f64 v[174:175], v[176:177], s[58:59]
	v_fma_f64 v[225:226], v[97:98], s[20:21], v[103:104]
	v_fma_f64 v[103:104], v[97:98], s[20:21], -v[103:104]
	v_fma_f64 v[172:173], v[99:100], s[20:21], -v[101:102]
	v_fma_f64 v[101:102], v[99:100], s[20:21], v[101:102]
	v_add_f64 v[103:104], v[103:104], v[186:187]
	v_add_f64 v[172:173], v[172:173], v[184:185]
	;; [unrolled: 1-line block ×3, first 2 shown]
	v_fma_f64 v[196:197], v[99:100], s[34:35], -v[174:175]
	v_mul_f64 v[225:226], v[178:179], s[58:59]
	v_add_f64 v[101:102], v[101:102], v[182:183]
	v_fma_f64 v[174:175], v[99:100], s[34:35], v[174:175]
	v_add_f64 v[182:183], v[196:197], v[190:191]
	v_fma_f64 v[186:187], v[97:98], s[34:35], v[225:226]
	v_mul_f64 v[190:191], v[176:177], s[50:51]
	v_mul_f64 v[196:197], v[178:179], s[50:51]
	v_fma_f64 v[225:226], v[97:98], s[34:35], -v[225:226]
	v_add_f64 v[174:175], v[174:175], v[188:189]
	v_add_f64 v[186:187], v[186:187], v[198:199]
	v_fma_f64 v[188:189], v[99:100], s[18:19], -v[190:191]
	v_fma_f64 v[198:199], v[97:98], s[18:19], v[196:197]
	v_add_f64 v[192:193], v[225:226], v[192:193]
	v_mul_f64 v[225:226], v[176:177], s[2:3]
	v_fma_f64 v[190:191], v[99:100], s[18:19], v[190:191]
	v_fma_f64 v[196:197], v[97:98], s[18:19], -v[196:197]
	v_add_f64 v[188:189], v[188:189], v[200:201]
	v_add_f64 v[198:199], v[198:199], v[206:207]
	v_mul_f64 v[206:207], v[178:179], s[2:3]
	v_fma_f64 v[200:201], v[99:100], s[16:17], -v[225:226]
	v_add_f64 v[190:191], v[190:191], v[194:195]
	v_add_f64 v[194:195], v[196:197], v[202:203]
	v_fma_f64 v[202:203], v[99:100], s[16:17], v[225:226]
	v_mul_f64 v[225:226], v[178:179], s[38:39]
	s_load_dwordx2 s[2:3], s[4:5], 0x38
	s_movk_i32 s4, 0x110
	v_add_f64 v[196:197], v[200:201], v[213:214]
	v_fma_f64 v[200:201], v[97:98], s[16:17], v[206:207]
	v_mul_f64 v[213:214], v[176:177], s[38:39]
	v_fma_f64 v[206:207], v[97:98], s[16:17], -v[206:207]
	v_add_f64 v[202:203], v[202:203], v[204:205]
	v_add_f64 v[200:201], v[200:201], v[211:212]
	v_fma_f64 v[204:205], v[99:100], s[40:41], -v[213:214]
	v_fma_f64 v[211:212], v[97:98], s[40:41], v[225:226]
	v_add_f64 v[206:207], v[206:207], v[215:216]
	v_mul_f64 v[215:216], v[176:177], s[52:53]
	v_add_f64 v[204:205], v[204:205], v[219:220]
	v_add_f64 v[8:9], v[211:212], v[8:9]
	v_fma_f64 v[211:212], v[99:100], s[40:41], v[213:214]
	v_fma_f64 v[213:214], v[97:98], s[40:41], -v[225:226]
	v_mul_f64 v[219:220], v[178:179], s[52:53]
	v_fma_f64 v[225:226], v[99:100], s[6:7], -v[215:216]
	v_fma_f64 v[215:216], v[99:100], s[6:7], v[215:216]
	v_add_f64 v[211:212], v[211:212], v[217:218]
	v_add_f64 v[0:1], v[213:214], v[0:1]
	v_fma_f64 v[213:214], v[97:98], s[6:7], v[219:220]
	v_add_f64 v[217:218], v[225:226], v[223:224]
	v_mul_f64 v[223:224], v[176:177], s[30:31]
	v_mul_f64 v[225:226], v[178:179], s[30:31]
	v_add_f64 v[215:216], v[215:216], v[221:222]
	v_mul_f64 v[176:177], v[176:177], s[28:29]
	v_mul_f64 v[178:179], v[178:179], s[28:29]
	v_add_f64 v[10:11], v[213:214], v[10:11]
	v_fma_f64 v[213:214], v[97:98], s[6:7], -v[219:220]
	v_fma_f64 v[219:220], v[99:100], s[24:25], -v[223:224]
	v_fma_f64 v[221:222], v[97:98], s[24:25], v[225:226]
	v_add_f64 v[2:3], v[213:214], v[2:3]
	v_add_f64 v[180:181], v[219:220], v[180:181]
	;; [unrolled: 1-line block ×3, first 2 shown]
	v_add_f64 v[219:220], v[89:90], -v[93:94]
	v_add_f64 v[221:222], v[91:92], -v[95:96]
	v_fma_f64 v[213:214], v[99:100], s[24:25], v[223:224]
	v_fma_f64 v[223:224], v[97:98], s[24:25], -v[225:226]
	v_fma_f64 v[225:226], v[99:100], s[26:27], -v[176:177]
	v_fma_f64 v[99:100], v[99:100], s[26:27], v[176:177]
	v_add_f64 v[91:92], v[91:92], v[95:96]
	v_add_f64 v[89:90], v[89:90], v[93:94]
	v_mul_f64 v[93:94], v[219:220], s[28:29]
	v_mul_f64 v[95:96], v[221:222], s[28:29]
	v_fma_f64 v[176:177], v[97:98], s[26:27], v[178:179]
	v_fma_f64 v[97:98], v[97:98], s[26:27], -v[178:179]
	v_add_f64 v[16:17], v[213:214], v[16:17]
	v_add_f64 v[99:100], v[99:100], v[105:106]
	v_mul_f64 v[105:106], v[219:220], s[54:55]
	v_add_f64 v[4:5], v[223:224], v[4:5]
	v_fma_f64 v[178:179], v[91:92], s[26:27], -v[93:94]
	v_fma_f64 v[213:214], v[89:90], s[26:27], v[95:96]
	v_fma_f64 v[93:94], v[91:92], s[26:27], v[93:94]
	v_add_f64 v[6:7], v[97:98], v[6:7]
	v_mul_f64 v[97:98], v[221:222], s[54:55]
	v_add_f64 v[14:15], v[176:177], v[14:15]
	v_fma_f64 v[95:96], v[89:90], s[26:27], -v[95:96]
	v_add_f64 v[18:19], v[225:226], v[18:19]
	v_add_f64 v[172:173], v[178:179], v[172:173]
	;; [unrolled: 1-line block ×3, first 2 shown]
	v_fma_f64 v[184:185], v[91:92], s[20:21], -v[105:106]
	v_mul_f64 v[213:214], v[221:222], s[30:31]
	v_fma_f64 v[223:224], v[89:90], s[20:21], v[97:98]
	v_add_f64 v[93:94], v[93:94], v[101:102]
	v_fma_f64 v[101:102], v[91:92], s[20:21], v[105:106]
	v_mul_f64 v[178:179], v[219:220], s[30:31]
	v_fma_f64 v[97:98], v[89:90], s[20:21], -v[97:98]
	v_add_f64 v[95:96], v[95:96], v[103:104]
	v_add_f64 v[105:106], v[184:185], v[182:183]
	v_fma_f64 v[182:183], v[89:90], s[24:25], v[213:214]
	v_add_f64 v[184:185], v[223:224], v[186:187]
	v_mul_f64 v[186:187], v[219:220], s[36:37]
	v_add_f64 v[101:102], v[101:102], v[174:175]
	v_mul_f64 v[174:175], v[221:222], s[36:37]
	v_fma_f64 v[103:104], v[91:92], s[24:25], -v[178:179]
	v_add_f64 v[97:98], v[97:98], v[192:193]
	v_fma_f64 v[178:179], v[91:92], s[24:25], v[178:179]
	v_add_f64 v[182:183], v[182:183], v[198:199]
	v_mul_f64 v[198:199], v[219:220], s[52:53]
	v_fma_f64 v[192:193], v[91:92], s[34:35], -v[186:187]
	v_fma_f64 v[186:187], v[91:92], s[34:35], v[186:187]
	v_fma_f64 v[223:224], v[89:90], s[34:35], v[174:175]
	v_add_f64 v[103:104], v[103:104], v[188:189]
	v_fma_f64 v[188:189], v[89:90], s[24:25], -v[213:214]
	v_mul_f64 v[213:214], v[221:222], s[52:53]
	v_add_f64 v[178:179], v[178:179], v[190:191]
	v_fma_f64 v[174:175], v[89:90], s[34:35], -v[174:175]
	v_add_f64 v[190:191], v[192:193], v[196:197]
	v_fma_f64 v[192:193], v[91:92], s[6:7], -v[198:199]
	v_add_f64 v[196:197], v[223:224], v[200:201]
	v_add_f64 v[186:187], v[186:187], v[202:203]
	v_fma_f64 v[198:199], v[91:92], s[6:7], v[198:199]
	v_mul_f64 v[200:201], v[219:220], s[46:47]
	v_mul_f64 v[202:203], v[221:222], s[46:47]
	v_add_f64 v[188:189], v[188:189], v[194:195]
	v_fma_f64 v[194:195], v[89:90], s[6:7], v[213:214]
	v_add_f64 v[174:175], v[174:175], v[206:207]
	v_fma_f64 v[206:207], v[89:90], s[6:7], -v[213:214]
	v_add_f64 v[192:193], v[192:193], v[204:205]
	v_add_f64 v[198:199], v[198:199], v[211:212]
	v_fma_f64 v[211:212], v[91:92], s[18:19], -v[200:201]
	v_fma_f64 v[213:214], v[89:90], s[18:19], v[202:203]
	v_fma_f64 v[202:203], v[89:90], s[18:19], -v[202:203]
	v_add_f64 v[8:9], v[194:195], v[8:9]
	v_mul_f64 v[194:195], v[219:220], s[38:39]
	v_mul_f64 v[204:205], v[221:222], s[38:39]
	v_fma_f64 v[200:201], v[91:92], s[18:19], v[200:201]
	v_add_f64 v[0:1], v[206:207], v[0:1]
	v_add_f64 v[206:207], v[211:212], v[217:218]
	v_add_f64 v[211:212], v[81:82], -v[85:86]
	v_add_f64 v[2:3], v[202:203], v[2:3]
	v_add_f64 v[202:203], v[83:84], -v[87:88]
	v_fma_f64 v[223:224], v[91:92], s[40:41], -v[194:195]
	v_fma_f64 v[225:226], v[89:90], s[40:41], v[204:205]
	v_add_f64 v[200:201], v[200:201], v[215:216]
	v_mul_f64 v[215:216], v[221:222], s[44:45]
	v_fma_f64 v[194:195], v[91:92], s[40:41], v[194:195]
	v_fma_f64 v[204:205], v[89:90], s[40:41], -v[204:205]
	v_add_f64 v[81:82], v[81:82], v[85:86]
	v_add_f64 v[83:84], v[83:84], v[87:88]
	v_mul_f64 v[85:86], v[202:203], s[36:37]
	v_mul_f64 v[87:88], v[211:212], s[36:37]
	v_add_f64 v[10:11], v[213:214], v[10:11]
	v_mul_f64 v[213:214], v[219:220], s[44:45]
	v_fma_f64 v[219:220], v[89:90], s[16:17], v[215:216]
	v_fma_f64 v[89:90], v[89:90], s[16:17], -v[215:216]
	v_add_f64 v[16:17], v[194:195], v[16:17]
	v_add_f64 v[4:5], v[204:205], v[4:5]
	v_fma_f64 v[194:195], v[81:82], s[34:35], -v[85:86]
	v_fma_f64 v[204:205], v[83:84], s[34:35], v[87:88]
	v_fma_f64 v[85:86], v[81:82], s[34:35], v[85:86]
	v_fma_f64 v[217:218], v[91:92], s[16:17], -v[213:214]
	v_fma_f64 v[91:92], v[91:92], s[16:17], v[213:214]
	v_add_f64 v[6:7], v[89:90], v[6:7]
	v_mul_f64 v[89:90], v[202:203], s[44:45]
	v_fma_f64 v[87:88], v[83:84], s[34:35], -v[87:88]
	v_add_f64 v[172:173], v[194:195], v[172:173]
	v_add_f64 v[176:177], v[204:205], v[176:177]
	v_mul_f64 v[194:195], v[202:203], s[42:43]
	v_mul_f64 v[204:205], v[211:212], s[42:43]
	v_add_f64 v[91:92], v[91:92], v[99:100]
	v_mul_f64 v[99:100], v[211:212], s[44:45]
	v_fma_f64 v[213:214], v[81:82], s[16:17], -v[89:90]
	v_fma_f64 v[89:90], v[81:82], s[16:17], v[89:90]
	v_add_f64 v[85:86], v[85:86], v[93:94]
	v_add_f64 v[87:88], v[87:88], v[95:96]
	v_fma_f64 v[93:94], v[81:82], s[6:7], -v[194:195]
	v_fma_f64 v[95:96], v[83:84], s[6:7], v[204:205]
	v_add_f64 v[12:13], v[225:226], v[12:13]
	v_fma_f64 v[215:216], v[83:84], s[16:17], v[99:100]
	v_fma_f64 v[99:100], v[83:84], s[16:17], -v[99:100]
	v_add_f64 v[89:90], v[89:90], v[101:102]
	v_mul_f64 v[101:102], v[211:212], s[56:57]
	v_add_f64 v[105:106], v[213:214], v[105:106]
	v_add_f64 v[93:94], v[93:94], v[103:104]
	;; [unrolled: 1-line block ×3, first 2 shown]
	v_fma_f64 v[103:104], v[81:82], s[6:7], v[194:195]
	v_fma_f64 v[182:183], v[83:84], s[6:7], -v[204:205]
	v_mul_f64 v[194:195], v[202:203], s[30:31]
	v_mul_f64 v[204:205], v[211:212], s[30:31]
	v_add_f64 v[184:185], v[215:216], v[184:185]
	v_add_f64 v[97:98], v[99:100], v[97:98]
	v_mul_f64 v[99:100], v[202:203], s[56:57]
	v_fma_f64 v[215:216], v[83:84], s[26:27], v[101:102]
	v_fma_f64 v[101:102], v[83:84], s[26:27], -v[101:102]
	v_add_f64 v[103:104], v[103:104], v[178:179]
	v_add_f64 v[178:179], v[182:183], v[188:189]
	v_fma_f64 v[182:183], v[81:82], s[24:25], -v[194:195]
	v_fma_f64 v[188:189], v[83:84], s[24:25], v[204:205]
	v_add_f64 v[180:181], v[223:224], v[180:181]
	v_fma_f64 v[213:214], v[81:82], s[26:27], -v[99:100]
	v_fma_f64 v[99:100], v[81:82], s[26:27], v[99:100]
	v_add_f64 v[101:102], v[101:102], v[174:175]
	v_mul_f64 v[174:175], v[202:203], s[38:39]
	v_add_f64 v[196:197], v[215:216], v[196:197]
	v_add_f64 v[182:183], v[182:183], v[192:193]
	v_add_f64 v[8:9], v[188:189], v[8:9]
	v_fma_f64 v[188:189], v[81:82], s[24:25], v[194:195]
	v_fma_f64 v[192:193], v[83:84], s[24:25], -v[204:205]
	v_mul_f64 v[204:205], v[211:212], s[50:51]
	v_add_f64 v[190:191], v[213:214], v[190:191]
	v_add_f64 v[99:100], v[99:100], v[186:187]
	v_mul_f64 v[186:187], v[211:212], s[38:39]
	v_mul_f64 v[194:195], v[202:203], s[50:51]
	v_fma_f64 v[213:214], v[81:82], s[40:41], -v[174:175]
	v_fma_f64 v[174:175], v[81:82], s[40:41], v[174:175]
	v_add_f64 v[188:189], v[188:189], v[198:199]
	v_fma_f64 v[198:199], v[83:84], s[18:19], v[204:205]
	v_add_f64 v[0:1], v[192:193], v[0:1]
	v_add_f64 v[18:19], v[217:218], v[18:19]
	v_fma_f64 v[215:216], v[83:84], s[40:41], v[186:187]
	v_fma_f64 v[192:193], v[81:82], s[18:19], -v[194:195]
	v_fma_f64 v[186:187], v[83:84], s[40:41], -v[186:187]
	v_add_f64 v[200:201], v[174:175], v[200:201]
	v_mul_f64 v[174:175], v[202:203], s[22:23]
	v_add_f64 v[12:13], v[198:199], v[12:13]
	v_add_f64 v[198:199], v[75:76], -v[79:80]
	v_add_f64 v[202:203], v[73:74], -v[77:78]
	v_add_f64 v[206:207], v[213:214], v[206:207]
	v_add_f64 v[10:11], v[215:216], v[10:11]
	;; [unrolled: 1-line block ×3, first 2 shown]
	v_fma_f64 v[180:181], v[81:82], s[18:19], v[194:195]
	v_fma_f64 v[194:195], v[83:84], s[18:19], -v[204:205]
	v_add_f64 v[213:214], v[73:74], v[77:78]
	v_add_f64 v[215:216], v[75:76], v[79:80]
	v_mul_f64 v[73:74], v[198:199], s[38:39]
	v_mul_f64 v[75:76], v[202:203], s[38:39]
	v_add_f64 v[2:3], v[186:187], v[2:3]
	v_mul_f64 v[186:187], v[211:212], s[22:23]
	v_fma_f64 v[204:205], v[81:82], s[20:21], -v[174:175]
	v_add_f64 v[16:17], v[180:181], v[16:17]
	v_add_f64 v[4:5], v[194:195], v[4:5]
	v_fma_f64 v[77:78], v[81:82], s[20:21], v[174:175]
	v_fma_f64 v[81:82], v[213:214], s[40:41], -v[73:74]
	v_mul_f64 v[180:181], v[198:199], s[48:49]
	v_fma_f64 v[174:175], v[213:214], s[40:41], v[73:74]
	v_fma_f64 v[194:195], v[215:216], s[40:41], -v[75:76]
	v_fma_f64 v[211:212], v[83:84], s[20:21], v[186:187]
	v_add_f64 v[18:19], v[204:205], v[18:19]
	v_fma_f64 v[79:80], v[83:84], s[20:21], -v[186:187]
	v_fma_f64 v[83:84], v[215:216], s[40:41], v[75:76]
	v_mul_f64 v[186:187], v[202:203], s[48:49]
	v_add_f64 v[204:205], v[77:78], v[91:92]
	v_add_f64 v[73:74], v[81:82], v[172:173]
	v_fma_f64 v[77:78], v[213:214], s[24:25], -v[180:181]
	v_add_f64 v[172:173], v[174:175], v[85:86]
	v_add_f64 v[174:175], v[194:195], v[87:88]
	v_mul_f64 v[87:88], v[202:203], s[36:37]
	v_add_f64 v[6:7], v[79:80], v[6:7]
	v_add_f64 v[75:76], v[83:84], v[176:177]
	v_fma_f64 v[79:80], v[215:216], s[24:25], v[186:187]
	v_mul_f64 v[85:86], v[198:199], s[36:37]
	v_fma_f64 v[81:82], v[213:214], s[24:25], v[180:181]
	v_fma_f64 v[83:84], v[215:216], s[24:25], -v[186:187]
	v_add_f64 v[77:78], v[77:78], v[105:106]
	v_mul_f64 v[105:106], v[198:199], s[50:51]
	v_mul_f64 v[176:177], v[202:203], s[50:51]
	v_fma_f64 v[180:181], v[215:216], s[34:35], v[87:88]
	v_add_f64 v[79:80], v[79:80], v[184:185]
	v_fma_f64 v[91:92], v[213:214], s[34:35], -v[85:86]
	v_add_f64 v[81:82], v[81:82], v[89:90]
	v_add_f64 v[83:84], v[83:84], v[97:98]
	v_fma_f64 v[89:90], v[213:214], s[34:35], v[85:86]
	v_fma_f64 v[97:98], v[215:216], s[34:35], -v[87:88]
	v_fma_f64 v[184:185], v[213:214], s[18:19], -v[105:106]
	v_fma_f64 v[186:187], v[215:216], s[18:19], v[176:177]
	v_add_f64 v[87:88], v[180:181], v[95:96]
	v_mul_f64 v[180:181], v[198:199], s[28:29]
	v_mul_f64 v[194:195], v[202:203], s[28:29]
	v_add_f64 v[85:86], v[91:92], v[93:94]
	v_add_f64 v[89:90], v[89:90], v[103:104]
	;; [unrolled: 1-line block ×5, first 2 shown]
	v_fma_f64 v[97:98], v[213:214], s[18:19], v[105:106]
	v_fma_f64 v[103:104], v[215:216], s[18:19], -v[176:177]
	v_fma_f64 v[105:106], v[213:214], s[26:27], -v[180:181]
	v_fma_f64 v[176:177], v[215:216], s[26:27], v[194:195]
	v_mul_f64 v[184:185], v[198:199], s[44:45]
	v_mul_f64 v[186:187], v[202:203], s[44:45]
	v_fma_f64 v[178:179], v[213:214], s[26:27], v[180:181]
	v_fma_f64 v[180:181], v[215:216], s[26:27], -v[194:195]
	v_add_f64 v[97:98], v[97:98], v[99:100]
	v_add_f64 v[99:100], v[103:104], v[101:102]
	;; [unrolled: 1-line block ×4, first 2 shown]
	v_fma_f64 v[8:9], v[213:214], s[16:17], -v[184:185]
	v_fma_f64 v[105:106], v[215:216], s[16:17], v[186:187]
	v_add_f64 v[176:177], v[178:179], v[188:189]
	v_add_f64 v[178:179], v[180:181], v[0:1]
	v_fma_f64 v[0:1], v[213:214], s[16:17], v[184:185]
	v_mul_f64 v[188:189], v[198:199], s[22:23]
	v_add_f64 v[14:15], v[219:220], v[14:15]
	v_fma_f64 v[186:187], v[215:216], s[16:17], -v[186:187]
	v_mul_f64 v[190:191], v[202:203], s[22:23]
	v_add_f64 v[180:181], v[8:9], v[206:207]
	v_add_f64 v[182:183], v[105:106], v[10:11]
	v_mul_f64 v[8:9], v[198:199], s[52:53]
	v_mul_f64 v[10:11], v[202:203], s[52:53]
	v_add_f64 v[184:185], v[0:1], v[200:201]
	v_fma_f64 v[0:1], v[213:214], s[20:21], -v[188:189]
	v_add_f64 v[14:15], v[211:212], v[14:15]
	v_add_f64 v[186:187], v[186:187], v[2:3]
	v_fma_f64 v[2:3], v[215:216], s[20:21], v[190:191]
	v_fma_f64 v[105:106], v[213:214], s[20:21], v[188:189]
	v_fma_f64 v[194:195], v[215:216], s[20:21], -v[190:191]
	v_fma_f64 v[196:197], v[213:214], s[6:7], -v[8:9]
	v_fma_f64 v[198:199], v[215:216], s[6:7], v[10:11]
	v_fma_f64 v[8:9], v[213:214], s[6:7], v[8:9]
	v_fma_f64 v[10:11], v[215:216], s[6:7], -v[10:11]
	v_add_f64 v[188:189], v[0:1], v[192:193]
	v_mov_b32_e32 v0, 0x121
	v_cndmask_b32_e64 v0, 0, v0, s[0:1]
	v_add_u32_e32 v0, v72, v0
	v_add_f64 v[190:191], v[2:3], v[12:13]
	v_add_f64 v[192:193], v[105:106], v[16:17]
	;; [unrolled: 1-line block ×7, first 2 shown]
	v_lshl_add_u32 v239, v0, 4, v210
	ds_write_b128 v239, v[68:71]
	ds_write_b128 v239, v[73:76] offset:272
	ds_write_b128 v239, v[77:80] offset:544
	ds_write_b128 v239, v[85:88] offset:816
	ds_write_b128 v239, v[93:96] offset:1088
	ds_write_b128 v239, v[101:104] offset:1360
	ds_write_b128 v239, v[180:183] offset:1632
	ds_write_b128 v239, v[188:191] offset:1904
	ds_write_b128 v239, v[196:199] offset:2176
	ds_write_b128 v239, v[200:203] offset:2448
	ds_write_b128 v239, v[192:195] offset:2720
	ds_write_b128 v239, v[184:187] offset:2992
	ds_write_b128 v239, v[176:179] offset:3264
	ds_write_b128 v239, v[97:100] offset:3536
	ds_write_b128 v239, v[89:92] offset:3808
	ds_write_b128 v239, v[81:84] offset:4080
	ds_write_b128 v239, v[172:175] offset:4352
	s_waitcnt lgkmcnt(0)
	s_barrier
	ds_read_b128 v[200:203], v238
	ds_read_b128 v[196:199], v238 offset:544
	ds_read_b128 v[80:83], v238 offset:4624
	;; [unrolled: 1-line block ×15, first 2 shown]
	v_add_co_u32_e64 v72, s[0:1], s4, v237
	v_addc_co_u32_e64 v73, s[0:1], 0, 0, s[0:1]
                                        ; implicit-def: $vgpr204_vgpr205
	s_and_saveexec_b64 s[0:1], vcc
	s_cbranch_execz .LBB0_3
; %bb.2:
	ds_read_b128 v[172:175], v238 offset:4352
	ds_read_b128 v[204:207], v238 offset:8976
	v_mov_b32_e32 v209, v73
	v_mov_b32_e32 v208, v72
.LBB0_3:
	s_or_b64 exec, exec, s[0:1]
	v_lshlrev_b32_e32 v0, 4, v72
	global_load_dwordx4 v[72:75], v0, s[14:15]
	v_lshlrev_b32_e32 v211, 4, v237
	v_add_co_u32_e64 v4, s[0:1], s14, v211
	v_mov_b32_e32 v20, s15
	v_addc_co_u32_e64 v5, s[0:1], 0, v20, s[0:1]
	v_add_co_u32_e64 v4, s[0:1], s33, v4
	v_addc_co_u32_e64 v5, s[0:1], 0, v5, s[0:1]
	s_waitcnt vmcnt(0) lgkmcnt(13)
	v_mul_f64 v[0:1], v[82:83], v[74:75]
	v_mul_f64 v[2:3], v[80:81], v[74:75]
	v_fma_f64 v[0:1], v[80:81], v[72:73], -v[0:1]
	v_fma_f64 v[2:3], v[82:83], v[72:73], v[2:3]
	global_load_dwordx4 v[80:83], v[4:5], off offset:800
	s_waitcnt vmcnt(0) lgkmcnt(12)
	v_mul_f64 v[6:7], v[86:87], v[82:83]
	v_mul_f64 v[8:9], v[84:85], v[82:83]
	v_fma_f64 v[6:7], v[84:85], v[80:81], -v[6:7]
	v_fma_f64 v[8:9], v[86:87], v[80:81], v[8:9]
	global_load_dwordx4 v[84:87], v[4:5], off offset:1344
	v_add_f64 v[214:215], v[198:199], -v[8:9]
	v_fma_f64 v[198:199], v[198:199], 2.0, -v[214:215]
	s_waitcnt vmcnt(0) lgkmcnt(9)
	v_mul_f64 v[10:11], v[90:91], v[86:87]
	v_mul_f64 v[12:13], v[88:89], v[86:87]
	v_fma_f64 v[10:11], v[88:89], v[84:85], -v[10:11]
	v_fma_f64 v[12:13], v[90:91], v[84:85], v[12:13]
	global_load_dwordx4 v[88:91], v[4:5], off offset:1888
	v_add_f64 v[216:217], v[192:193], -v[10:11]
	v_add_f64 v[218:219], v[194:195], -v[12:13]
	v_fma_f64 v[192:193], v[192:193], 2.0, -v[216:217]
	v_fma_f64 v[194:195], v[194:195], 2.0, -v[218:219]
	s_waitcnt vmcnt(0) lgkmcnt(8)
	v_mul_f64 v[14:15], v[94:95], v[90:91]
	v_mul_f64 v[16:17], v[92:93], v[90:91]
	v_fma_f64 v[14:15], v[92:93], v[88:89], -v[14:15]
	v_fma_f64 v[16:17], v[94:95], v[88:89], v[16:17]
	global_load_dwordx4 v[92:95], v[4:5], off offset:2432
	v_add_f64 v[220:221], v[188:189], -v[14:15]
	v_add_f64 v[222:223], v[190:191], -v[16:17]
	v_fma_f64 v[188:189], v[188:189], 2.0, -v[220:221]
	v_fma_f64 v[190:191], v[190:191], 2.0, -v[222:223]
	s_waitcnt vmcnt(0) lgkmcnt(5)
	v_mul_f64 v[18:19], v[98:99], v[94:95]
	v_fma_f64 v[18:19], v[96:97], v[92:93], -v[18:19]
	v_mul_f64 v[96:97], v[96:97], v[94:95]
	v_add_f64 v[224:225], v[184:185], -v[18:19]
	v_fma_f64 v[226:227], v[98:99], v[92:93], v[96:97]
	global_load_dwordx4 v[96:99], v[4:5], off offset:2976
	v_fma_f64 v[184:185], v[184:185], 2.0, -v[224:225]
	v_add_f64 v[226:227], v[186:187], -v[226:227]
	v_fma_f64 v[186:187], v[186:187], 2.0, -v[226:227]
	s_waitcnt vmcnt(0) lgkmcnt(4)
	v_mul_f64 v[212:213], v[102:103], v[98:99]
	v_fma_f64 v[228:229], v[100:101], v[96:97], -v[212:213]
	v_mul_f64 v[100:101], v[100:101], v[98:99]
	v_add_f64 v[228:229], v[180:181], -v[228:229]
	v_fma_f64 v[230:231], v[102:103], v[96:97], v[100:101]
	global_load_dwordx4 v[100:103], v[4:5], off offset:3520
	v_fma_f64 v[180:181], v[180:181], 2.0, -v[228:229]
	v_add_f64 v[230:231], v[182:183], -v[230:231]
	v_fma_f64 v[182:183], v[182:183], 2.0, -v[230:231]
	s_waitcnt vmcnt(0) lgkmcnt(1)
	v_mul_f64 v[212:213], v[106:107], v[102:103]
	v_fma_f64 v[232:233], v[104:105], v[100:101], -v[212:213]
	v_mul_f64 v[104:105], v[104:105], v[102:103]
	v_add_f64 v[212:213], v[196:197], -v[6:7]
	v_add_f64 v[232:233], v[176:177], -v[232:233]
	v_fma_f64 v[234:235], v[106:107], v[100:101], v[104:105]
	global_load_dwordx4 v[104:107], v[4:5], off offset:4064
	v_fma_f64 v[196:197], v[196:197], 2.0, -v[212:213]
	v_fma_f64 v[176:177], v[176:177], 2.0, -v[232:233]
	v_add_f64 v[234:235], v[178:179], -v[234:235]
	v_fma_f64 v[178:179], v[178:179], 2.0, -v[234:235]
	s_waitcnt vmcnt(0) lgkmcnt(0)
	v_mul_f64 v[4:5], v[70:71], v[106:107]
	v_fma_f64 v[4:5], v[68:69], v[104:105], -v[4:5]
	v_mul_f64 v[68:69], v[68:69], v[106:107]
	v_add_f64 v[244:245], v[76:77], -v[4:5]
	v_fma_f64 v[240:241], v[70:71], v[104:105], v[68:69]
	v_lshlrev_b64 v[68:69], 4, v[208:209]
	v_add_co_u32_e64 v21, s[0:1], s14, v68
	v_addc_co_u32_e64 v20, s[0:1], v20, v69, s[0:1]
	v_add_co_u32_e64 v68, s[0:1], s33, v21
	v_addc_co_u32_e64 v69, s[0:1], 0, v20, s[0:1]
	global_load_dwordx4 v[68:71], v[68:69], off offset:256
	v_add_f64 v[246:247], v[78:79], -v[240:241]
	v_fma_f64 v[248:249], v[76:77], 2.0, -v[244:245]
	v_lshl_add_u32 v240, v237, 4, v210
	v_fma_f64 v[250:251], v[78:79], 2.0, -v[246:247]
	s_waitcnt vmcnt(0)
	v_mul_f64 v[208:209], v[206:207], v[70:71]
	v_fma_f64 v[208:209], v[204:205], v[68:69], -v[208:209]
	v_mul_f64 v[204:205], v[204:205], v[70:71]
	v_add_f64 v[76:77], v[172:173], -v[208:209]
	v_fma_f64 v[252:253], v[206:207], v[68:69], v[204:205]
	v_add_f64 v[204:205], v[200:201], -v[0:1]
	v_add_f64 v[206:207], v[202:203], -v[2:3]
	v_add_f64 v[78:79], v[174:175], -v[252:253]
	v_fma_f64 v[200:201], v[200:201], 2.0, -v[204:205]
	v_fma_f64 v[202:203], v[202:203], 2.0, -v[206:207]
	ds_write_b128 v238, v[200:203]
	ds_write_b128 v240, v[204:207] offset:4624
	ds_write_b128 v238, v[196:199] offset:544
	;; [unrolled: 1-line block ×15, first 2 shown]
	s_and_saveexec_b64 s[0:1], vcc
	s_cbranch_execz .LBB0_5
; %bb.4:
	v_fma_f64 v[174:175], v[174:175], 2.0, -v[78:79]
	v_fma_f64 v[172:173], v[172:173], 2.0, -v[76:77]
	ds_write_b128 v238, v[172:175] offset:4352
	ds_write_b128 v240, v[76:79] offset:8976
.LBB0_5:
	s_or_b64 exec, exec, s[0:1]
	v_add_co_u32_e64 v172, s[0:1], s12, v211
	v_mov_b32_e32 v0, s13
	v_addc_co_u32_e64 v173, s[0:1], 0, v0, s[0:1]
	s_movk_i32 s0, 0x2420
	v_add_co_u32_e64 v0, s[0:1], s0, v172
	v_addc_co_u32_e64 v1, s[0:1], 0, v173, s[0:1]
	s_movk_i32 s0, 0x2000
	v_add_co_u32_e64 v2, s[0:1], s0, v172
	v_addc_co_u32_e64 v3, s[0:1], 0, v173, s[0:1]
	s_waitcnt lgkmcnt(0)
	s_barrier
	global_load_dwordx4 v[178:181], v[2:3], off offset:1056
	ds_read_b128 v[174:177], v238
	s_movk_i32 s0, 0x3000
	s_mov_b32 s4, 0x3259b75e
	s_mov_b32 s26, 0x923c349f
	;; [unrolled: 1-line block ×43, first 2 shown]
	s_waitcnt vmcnt(0) lgkmcnt(0)
	v_mul_f64 v[2:3], v[176:177], v[180:181]
	v_fma_f64 v[182:183], v[174:175], v[178:179], -v[2:3]
	v_mul_f64 v[2:3], v[174:175], v[180:181]
	v_fma_f64 v[184:185], v[176:177], v[178:179], v[2:3]
	global_load_dwordx4 v[178:181], v[0:1], off offset:544
	ds_read_b128 v[174:177], v238 offset:544
	ds_write_b128 v238, v[182:185]
	s_waitcnt vmcnt(0) lgkmcnt(1)
	v_mul_f64 v[2:3], v[176:177], v[180:181]
	v_fma_f64 v[182:183], v[174:175], v[178:179], -v[2:3]
	v_mul_f64 v[2:3], v[174:175], v[180:181]
	v_fma_f64 v[184:185], v[176:177], v[178:179], v[2:3]
	global_load_dwordx4 v[178:181], v[0:1], off offset:1088
	ds_read_b128 v[174:177], v238 offset:1088
	ds_write_b128 v238, v[182:185] offset:544
	s_waitcnt vmcnt(0) lgkmcnt(1)
	v_mul_f64 v[2:3], v[176:177], v[180:181]
	v_fma_f64 v[182:183], v[174:175], v[178:179], -v[2:3]
	v_mul_f64 v[2:3], v[174:175], v[180:181]
	v_fma_f64 v[184:185], v[176:177], v[178:179], v[2:3]
	global_load_dwordx4 v[178:181], v[0:1], off offset:1632
	ds_read_b128 v[174:177], v238 offset:1632
	ds_write_b128 v238, v[182:185] offset:1088
	;; [unrolled: 8-line block ×6, first 2 shown]
	s_waitcnt vmcnt(0) lgkmcnt(1)
	v_mul_f64 v[0:1], v[176:177], v[180:181]
	v_fma_f64 v[182:183], v[174:175], v[178:179], -v[0:1]
	v_mul_f64 v[0:1], v[174:175], v[180:181]
	v_fma_f64 v[184:185], v[176:177], v[178:179], v[0:1]
	v_add_co_u32_e64 v0, s[0:1], s0, v172
	v_addc_co_u32_e64 v1, s[0:1], 0, v173, s[0:1]
	global_load_dwordx4 v[178:181], v[0:1], off offset:1312
	ds_read_b128 v[174:177], v238 offset:4352
	s_movk_i32 s0, 0x4000
	ds_write_b128 v238, v[182:185] offset:3808
	s_waitcnt vmcnt(0) lgkmcnt(1)
	v_mul_f64 v[2:3], v[176:177], v[180:181]
	v_fma_f64 v[182:183], v[174:175], v[178:179], -v[2:3]
	v_mul_f64 v[2:3], v[174:175], v[180:181]
	v_fma_f64 v[184:185], v[176:177], v[178:179], v[2:3]
	global_load_dwordx4 v[178:181], v[0:1], off offset:1856
	ds_read_b128 v[174:177], v238 offset:4896
	ds_write_b128 v238, v[182:185] offset:4352
	s_waitcnt vmcnt(0) lgkmcnt(1)
	v_mul_f64 v[2:3], v[176:177], v[180:181]
	v_fma_f64 v[182:183], v[174:175], v[178:179], -v[2:3]
	v_mul_f64 v[2:3], v[174:175], v[180:181]
	v_fma_f64 v[184:185], v[176:177], v[178:179], v[2:3]
	global_load_dwordx4 v[178:181], v[0:1], off offset:2400
	ds_read_b128 v[174:177], v238 offset:5440
	ds_write_b128 v238, v[182:185] offset:4896
	s_waitcnt vmcnt(0) lgkmcnt(1)
	v_mul_f64 v[2:3], v[176:177], v[180:181]
	v_fma_f64 v[182:183], v[174:175], v[178:179], -v[2:3]
	v_mul_f64 v[2:3], v[174:175], v[180:181]
	v_fma_f64 v[184:185], v[176:177], v[178:179], v[2:3]
	global_load_dwordx4 v[178:181], v[0:1], off offset:2944
	ds_read_b128 v[174:177], v238 offset:5984
	ds_write_b128 v238, v[182:185] offset:5440
	s_waitcnt vmcnt(0) lgkmcnt(1)
	v_mul_f64 v[2:3], v[176:177], v[180:181]
	v_fma_f64 v[182:183], v[174:175], v[178:179], -v[2:3]
	v_mul_f64 v[2:3], v[174:175], v[180:181]
	v_fma_f64 v[184:185], v[176:177], v[178:179], v[2:3]
	global_load_dwordx4 v[178:181], v[0:1], off offset:3488
	ds_read_b128 v[174:177], v238 offset:6528
	ds_write_b128 v238, v[182:185] offset:5984
	s_waitcnt vmcnt(0) lgkmcnt(1)
	v_mul_f64 v[2:3], v[176:177], v[180:181]
	v_fma_f64 v[182:183], v[174:175], v[178:179], -v[2:3]
	v_mul_f64 v[2:3], v[174:175], v[180:181]
	v_fma_f64 v[184:185], v[176:177], v[178:179], v[2:3]
	global_load_dwordx4 v[178:181], v[0:1], off offset:4032
	ds_read_b128 v[174:177], v238 offset:7072
	ds_write_b128 v238, v[182:185] offset:6528
	s_waitcnt vmcnt(0) lgkmcnt(1)
	v_mul_f64 v[0:1], v[176:177], v[180:181]
	v_fma_f64 v[182:183], v[174:175], v[178:179], -v[0:1]
	v_mul_f64 v[0:1], v[174:175], v[180:181]
	v_fma_f64 v[184:185], v[176:177], v[178:179], v[0:1]
	v_add_co_u32_e64 v0, s[0:1], s0, v172
	v_addc_co_u32_e64 v1, s[0:1], 0, v173, s[0:1]
	global_load_dwordx4 v[178:181], v[0:1], off offset:480
	ds_read_b128 v[174:177], v238 offset:7616
	s_mov_b32 s0, 0xeb564b22
	ds_write_b128 v238, v[182:185] offset:7072
	s_mov_b32 s1, 0xbfefdd0d
	s_mov_b32 s6, s0
	s_waitcnt vmcnt(0) lgkmcnt(1)
	v_mul_f64 v[2:3], v[176:177], v[180:181]
	v_fma_f64 v[172:173], v[174:175], v[178:179], -v[2:3]
	v_mul_f64 v[2:3], v[174:175], v[180:181]
	v_fma_f64 v[174:175], v[176:177], v[178:179], v[2:3]
	global_load_dwordx4 v[176:179], v[0:1], off offset:1024
	ds_write_b128 v238, v[172:175] offset:7616
	ds_read_b128 v[172:175], v238 offset:8160
	s_waitcnt vmcnt(0) lgkmcnt(0)
	v_mul_f64 v[2:3], v[174:175], v[178:179]
	v_fma_f64 v[180:181], v[172:173], v[176:177], -v[2:3]
	v_mul_f64 v[2:3], v[172:173], v[178:179]
	v_fma_f64 v[182:183], v[174:175], v[176:177], v[2:3]
	global_load_dwordx4 v[176:179], v[0:1], off offset:1568
	ds_read_b128 v[172:175], v238 offset:8704
	ds_write_b128 v238, v[180:183] offset:8160
	s_waitcnt vmcnt(0) lgkmcnt(1)
	v_mul_f64 v[0:1], v[174:175], v[178:179]
	v_fma_f64 v[180:181], v[172:173], v[176:177], -v[0:1]
	v_mul_f64 v[0:1], v[172:173], v[178:179]
	v_fma_f64 v[182:183], v[174:175], v[176:177], v[0:1]
	ds_write_b128 v238, v[180:183] offset:8704
	s_waitcnt lgkmcnt(0)
	s_barrier
	ds_read_b128 v[232:235], v238
	ds_read_b128 v[244:247], v238 offset:544
	ds_read_b128 v[224:227], v238 offset:1088
	ds_read_b128 v[216:219], v238 offset:1632
	ds_read_b128 v[208:211], v238 offset:2176
	ds_read_b128 v[200:203], v238 offset:2720
	ds_read_b128 v[192:195], v238 offset:3264
	ds_read_b128 v[184:187], v238 offset:3808
	ds_read_b128 v[176:179], v238 offset:4352
	ds_read_b128 v[180:183], v238 offset:4896
	ds_read_b128 v[188:191], v238 offset:5440
	ds_read_b128 v[196:199], v238 offset:5984
	ds_read_b128 v[204:207], v238 offset:6528
	ds_read_b128 v[212:215], v238 offset:7072
	ds_read_b128 v[220:223], v238 offset:7616
	ds_read_b128 v[228:231], v238 offset:8160
	ds_read_b128 v[248:251], v238 offset:8704
	s_waitcnt lgkmcnt(14)
	v_add_f64 v[0:1], v[232:233], v[244:245]
	v_add_f64 v[2:3], v[234:235], v[246:247]
	s_waitcnt lgkmcnt(1)
	v_add_f64 v[50:51], v[224:225], -v[228:229]
	s_waitcnt lgkmcnt(0)
	v_add_f64 v[6:7], v[246:247], -v[250:251]
	v_add_f64 v[4:5], v[244:245], -v[248:249]
	v_add_f64 v[0:1], v[0:1], v[224:225]
	v_add_f64 v[2:3], v[2:3], v[226:227]
	v_mul_f64 v[241:242], v[6:7], s[0:1]
	v_mul_f64 v[8:9], v[6:7], s[22:23]
	;; [unrolled: 1-line block ×3, first 2 shown]
	v_add_f64 v[0:1], v[0:1], v[216:217]
	v_add_f64 v[2:3], v[2:3], v[218:219]
	;; [unrolled: 1-line block ×28, first 2 shown]
	buffer_store_dword v0, off, s[64:67], 0 offset:208 ; 4-byte Folded Spill
	s_nop 0
	buffer_store_dword v1, off, s[64:67], 0 offset:212 ; 4-byte Folded Spill
	buffer_store_dword v2, off, s[64:67], 0 offset:216 ; 4-byte Folded Spill
	;; [unrolled: 1-line block ×3, first 2 shown]
	v_add_f64 v[0:1], v[244:245], v[248:249]
	v_add_f64 v[2:3], v[246:247], v[250:251]
	v_mul_f64 v[248:249], v[6:7], s[14:15]
	s_waitcnt vmcnt(0)
	s_barrier
	v_fma_f64 v[172:173], v[0:1], s[4:5], v[241:242]
	v_fma_f64 v[22:23], v[0:1], s[4:5], -v[241:242]
	v_mul_f64 v[241:242], v[6:7], s[26:27]
	v_mul_f64 v[12:13], v[2:3], s[24:25]
	;; [unrolled: 1-line block ×8, first 2 shown]
	v_fma_f64 v[24:25], v[0:1], s[28:29], v[241:242]
	v_fma_f64 v[30:31], v[0:1], s[28:29], -v[241:242]
	v_mul_f64 v[241:242], v[6:7], s[38:39]
	v_mul_f64 v[2:3], v[2:3], s[52:53]
	v_fma_f64 v[14:15], v[4:5], s[30:31], v[12:13]
	v_fma_f64 v[12:13], v[4:5], s[22:23], v[12:13]
	;; [unrolled: 1-line block ×12, first 2 shown]
	v_fma_f64 v[38:39], v[0:1], s[40:41], -v[241:242]
	v_fma_f64 v[34:35], v[4:5], s[38:39], v[34:35]
	v_mul_f64 v[241:242], v[6:7], s[44:45]
	v_fma_f64 v[44:45], v[4:5], s[48:49], v[42:43]
	v_fma_f64 v[42:43], v[4:5], s[44:45], v[42:43]
	v_mul_f64 v[6:7], v[6:7], s[50:51]
	v_fma_f64 v[48:49], v[4:5], s[54:55], v[2:3]
	v_fma_f64 v[2:3], v[4:5], s[50:51], v[2:3]
	v_add_f64 v[4:5], v[224:225], v[228:229]
	v_add_f64 v[224:225], v[226:227], -v[230:231]
	v_fma_f64 v[10:11], v[0:1], s[24:25], v[8:9]
	v_fma_f64 v[8:9], v[0:1], s[24:25], -v[8:9]
	v_fma_f64 v[18:19], v[0:1], s[20:21], v[16:17]
	v_fma_f64 v[16:17], v[0:1], s[20:21], -v[16:17]
	;; [unrolled: 2-line block ×5, first 2 shown]
	v_add_f64 v[6:7], v[226:227], v[230:231]
	v_mul_f64 v[226:227], v[224:225], s[16:17]
	v_add_f64 v[10:11], v[232:233], v[10:11]
	v_add_f64 v[8:9], v[232:233], v[8:9]
	;; [unrolled: 1-line block ×7, first 2 shown]
	v_fma_f64 v[228:229], v[4:5], s[20:21], v[226:227]
	v_fma_f64 v[226:227], v[4:5], s[20:21], -v[226:227]
	v_add_f64 v[250:251], v[232:233], v[250:251]
	v_add_f64 v[248:249], v[232:233], v[248:249]
	;; [unrolled: 1-line block ×7, first 2 shown]
	v_mul_f64 v[228:229], v[6:7], s[20:21]
	v_add_f64 v[8:9], v[226:227], v[8:9]
	v_add_f64 v[32:33], v[232:233], v[32:33]
	v_add_f64 v[38:39], v[232:233], v[38:39]
	v_add_f64 v[40:41], v[232:233], v[40:41]
	v_add_f64 v[46:47], v[232:233], v[46:47]
	v_add_f64 v[241:242], v[232:233], v[241:242]
	v_add_f64 v[0:1], v[232:233], v[0:1]
	v_fma_f64 v[226:227], v[50:51], s[16:17], v[228:229]
	v_fma_f64 v[230:231], v[50:51], s[34:35], v[228:229]
	v_add_f64 v[174:175], v[234:235], v[174:175]
	v_add_f64 v[26:27], v[234:235], v[26:27]
	;; [unrolled: 1-line block ×7, first 2 shown]
	v_mul_f64 v[226:227], v[224:225], s[0:1]
	v_add_f64 v[14:15], v[230:231], v[14:15]
	v_add_f64 v[244:245], v[234:235], v[244:245]
	;; [unrolled: 1-line block ×7, first 2 shown]
	v_fma_f64 v[228:229], v[4:5], s[4:5], v[226:227]
	v_fma_f64 v[226:227], v[4:5], s[4:5], -v[226:227]
	v_add_f64 v[2:3], v[234:235], v[2:3]
	v_mul_f64 v[234:235], v[6:7], s[40:41]
	v_add_f64 v[18:19], v[228:229], v[18:19]
	v_mul_f64 v[228:229], v[6:7], s[4:5]
	v_add_f64 v[16:17], v[226:227], v[16:17]
	v_fma_f64 v[230:231], v[50:51], s[6:7], v[228:229]
	v_fma_f64 v[226:227], v[50:51], s[0:1], v[228:229]
	v_mul_f64 v[228:229], v[224:225], s[38:39]
	v_add_f64 v[230:231], v[230:231], v[246:247]
	v_mul_f64 v[246:247], v[224:225], s[50:51]
	v_fma_f64 v[232:233], v[4:5], s[40:41], v[228:229]
	v_fma_f64 v[228:229], v[4:5], s[40:41], -v[228:229]
	v_add_f64 v[226:227], v[226:227], v[244:245]
	v_fma_f64 v[244:245], v[50:51], s[42:43], v[234:235]
	v_fma_f64 v[234:235], v[50:51], s[38:39], v[234:235]
	v_add_f64 v[232:233], v[232:233], v[250:251]
	v_add_f64 v[228:229], v[228:229], v[248:249]
	v_fma_f64 v[248:249], v[4:5], s[52:53], v[246:247]
	v_fma_f64 v[246:247], v[4:5], s[52:53], -v[246:247]
	v_add_f64 v[234:235], v[234:235], v[252:253]
	v_add_f64 v[244:245], v[244:245], v[254:255]
	;; [unrolled: 1-line block ×3, first 2 shown]
	v_mul_f64 v[248:249], v[6:7], s[52:53]
	v_add_f64 v[22:23], v[246:247], v[22:23]
	v_fma_f64 v[246:247], v[50:51], s[50:51], v[248:249]
	v_fma_f64 v[250:251], v[50:51], s[54:55], v[248:249]
	v_add_f64 v[174:175], v[246:247], v[174:175]
	v_mul_f64 v[246:247], v[224:225], s[48:49]
	v_add_f64 v[20:21], v[250:251], v[20:21]
	v_fma_f64 v[248:249], v[4:5], s[46:47], v[246:247]
	v_fma_f64 v[246:247], v[4:5], s[46:47], -v[246:247]
	v_add_f64 v[24:25], v[248:249], v[24:25]
	v_mul_f64 v[248:249], v[6:7], s[46:47]
	v_add_f64 v[30:31], v[246:247], v[30:31]
	v_fma_f64 v[246:247], v[50:51], s[48:49], v[248:249]
	v_fma_f64 v[250:251], v[50:51], s[44:45], v[248:249]
	v_add_f64 v[26:27], v[246:247], v[26:27]
	v_mul_f64 v[246:247], v[224:225], s[36:37]
	v_add_f64 v[28:29], v[250:251], v[28:29]
	v_fma_f64 v[248:249], v[4:5], s[28:29], v[246:247]
	v_fma_f64 v[246:247], v[4:5], s[28:29], -v[246:247]
	v_add_f64 v[32:33], v[248:249], v[32:33]
	v_mul_f64 v[248:249], v[6:7], s[28:29]
	v_add_f64 v[38:39], v[246:247], v[38:39]
	v_fma_f64 v[246:247], v[50:51], s[36:37], v[248:249]
	v_fma_f64 v[250:251], v[50:51], s[26:27], v[248:249]
	v_add_f64 v[34:35], v[246:247], v[34:35]
	v_mul_f64 v[246:247], v[224:225], s[18:19]
	v_mul_f64 v[224:225], v[224:225], s[30:31]
	v_add_f64 v[36:37], v[250:251], v[36:37]
	v_fma_f64 v[248:249], v[4:5], s[12:13], v[246:247]
	v_fma_f64 v[246:247], v[4:5], s[12:13], -v[246:247]
	v_add_f64 v[40:41], v[248:249], v[40:41]
	v_mul_f64 v[248:249], v[6:7], s[12:13]
	v_add_f64 v[46:47], v[246:247], v[46:47]
	v_mul_f64 v[6:7], v[6:7], s[24:25]
	v_fma_f64 v[246:247], v[50:51], s[18:19], v[248:249]
	v_fma_f64 v[250:251], v[50:51], s[14:15], v[248:249]
	v_add_f64 v[42:43], v[246:247], v[42:43]
	v_fma_f64 v[246:247], v[4:5], s[24:25], v[224:225]
	v_fma_f64 v[4:5], v[4:5], s[24:25], -v[224:225]
	v_add_f64 v[44:45], v[250:251], v[44:45]
	v_add_f64 v[241:242], v[246:247], v[241:242]
	;; [unrolled: 1-line block ×3, first 2 shown]
	v_fma_f64 v[4:5], v[50:51], s[30:31], v[6:7]
	v_fma_f64 v[246:247], v[50:51], s[22:23], v[6:7]
	v_add_f64 v[50:51], v[216:217], -v[220:221]
	v_add_f64 v[6:7], v[218:219], v[222:223]
	v_add_f64 v[2:3], v[4:5], v[2:3]
	;; [unrolled: 1-line block ×3, first 2 shown]
	v_add_f64 v[216:217], v[218:219], -v[222:223]
	v_add_f64 v[48:49], v[246:247], v[48:49]
	v_mul_f64 v[218:219], v[216:217], s[14:15]
	v_fma_f64 v[220:221], v[4:5], s[12:13], v[218:219]
	v_fma_f64 v[218:219], v[4:5], s[12:13], -v[218:219]
	v_add_f64 v[10:11], v[220:221], v[10:11]
	v_mul_f64 v[220:221], v[6:7], s[12:13]
	v_add_f64 v[8:9], v[218:219], v[8:9]
	v_fma_f64 v[218:219], v[50:51], s[14:15], v[220:221]
	v_fma_f64 v[222:223], v[50:51], s[18:19], v[220:221]
	v_add_f64 v[12:13], v[218:219], v[12:13]
	v_mul_f64 v[218:219], v[216:217], s[38:39]
	v_add_f64 v[14:15], v[222:223], v[14:15]
	v_fma_f64 v[220:221], v[4:5], s[40:41], v[218:219]
	v_fma_f64 v[218:219], v[4:5], s[40:41], -v[218:219]
	v_add_f64 v[18:19], v[220:221], v[18:19]
	v_mul_f64 v[220:221], v[6:7], s[40:41]
	v_add_f64 v[16:17], v[218:219], v[16:17]
	v_fma_f64 v[222:223], v[50:51], s[42:43], v[220:221]
	v_fma_f64 v[218:219], v[50:51], s[38:39], v[220:221]
	v_mul_f64 v[220:221], v[216:217], s[54:55]
	v_add_f64 v[222:223], v[222:223], v[230:231]
	v_add_f64 v[218:219], v[218:219], v[226:227]
	v_fma_f64 v[224:225], v[4:5], s[52:53], v[220:221]
	v_fma_f64 v[220:221], v[4:5], s[52:53], -v[220:221]
	v_mul_f64 v[226:227], v[6:7], s[52:53]
	v_add_f64 v[224:225], v[224:225], v[232:233]
	v_add_f64 v[220:221], v[220:221], v[228:229]
	v_mul_f64 v[228:229], v[216:217], s[36:37]
	v_fma_f64 v[230:231], v[50:51], s[50:51], v[226:227]
	v_fma_f64 v[226:227], v[50:51], s[54:55], v[226:227]
	v_fma_f64 v[232:233], v[4:5], s[28:29], v[228:229]
	v_fma_f64 v[228:229], v[4:5], s[28:29], -v[228:229]
	v_add_f64 v[226:227], v[226:227], v[234:235]
	v_add_f64 v[230:231], v[230:231], v[244:245]
	;; [unrolled: 1-line block ×3, first 2 shown]
	v_mul_f64 v[232:233], v[6:7], s[28:29]
	v_add_f64 v[22:23], v[228:229], v[22:23]
	v_fma_f64 v[228:229], v[50:51], s[36:37], v[232:233]
	v_fma_f64 v[234:235], v[50:51], s[26:27], v[232:233]
	v_add_f64 v[174:175], v[228:229], v[174:175]
	v_mul_f64 v[228:229], v[216:217], s[34:35]
	v_add_f64 v[20:21], v[234:235], v[20:21]
	v_fma_f64 v[232:233], v[4:5], s[20:21], v[228:229]
	v_fma_f64 v[228:229], v[4:5], s[20:21], -v[228:229]
	v_add_f64 v[24:25], v[232:233], v[24:25]
	v_mul_f64 v[232:233], v[6:7], s[20:21]
	v_add_f64 v[30:31], v[228:229], v[30:31]
	v_fma_f64 v[228:229], v[50:51], s[34:35], v[232:233]
	v_fma_f64 v[234:235], v[50:51], s[16:17], v[232:233]
	v_add_f64 v[26:27], v[228:229], v[26:27]
	v_mul_f64 v[228:229], v[216:217], s[22:23]
	v_add_f64 v[28:29], v[234:235], v[28:29]
	v_fma_f64 v[232:233], v[4:5], s[24:25], v[228:229]
	v_fma_f64 v[228:229], v[4:5], s[24:25], -v[228:229]
	v_add_f64 v[32:33], v[232:233], v[32:33]
	v_mul_f64 v[232:233], v[6:7], s[24:25]
	v_add_f64 v[38:39], v[228:229], v[38:39]
	v_fma_f64 v[228:229], v[50:51], s[22:23], v[232:233]
	v_fma_f64 v[234:235], v[50:51], s[30:31], v[232:233]
	v_add_f64 v[34:35], v[228:229], v[34:35]
	v_mul_f64 v[228:229], v[216:217], s[0:1]
	v_mul_f64 v[216:217], v[216:217], s[44:45]
	v_add_f64 v[36:37], v[234:235], v[36:37]
	v_fma_f64 v[232:233], v[4:5], s[4:5], v[228:229]
	v_fma_f64 v[228:229], v[4:5], s[4:5], -v[228:229]
	v_add_f64 v[40:41], v[232:233], v[40:41]
	v_mul_f64 v[232:233], v[6:7], s[4:5]
	v_add_f64 v[46:47], v[228:229], v[46:47]
	v_mul_f64 v[6:7], v[6:7], s[46:47]
	v_fma_f64 v[228:229], v[50:51], s[0:1], v[232:233]
	v_fma_f64 v[234:235], v[50:51], s[6:7], v[232:233]
	;; [unrolled: 1-line block ×3, first 2 shown]
	v_add_f64 v[42:43], v[228:229], v[42:43]
	v_fma_f64 v[228:229], v[4:5], s[46:47], v[216:217]
	v_fma_f64 v[4:5], v[4:5], s[46:47], -v[216:217]
	v_add_f64 v[44:45], v[234:235], v[44:45]
	v_add_f64 v[234:235], v[178:179], -v[182:183]
	v_add_f64 v[48:49], v[232:233], v[48:49]
	v_add_f64 v[228:229], v[228:229], v[241:242]
	v_add_f64 v[0:1], v[4:5], v[0:1]
	v_fma_f64 v[4:5], v[50:51], s[44:45], v[6:7]
	v_add_f64 v[50:51], v[208:209], -v[212:213]
	v_add_f64 v[6:7], v[210:211], v[214:215]
	v_add_f64 v[2:3], v[4:5], v[2:3]
	;; [unrolled: 1-line block ×3, first 2 shown]
	v_add_f64 v[208:209], v[210:211], -v[214:215]
	v_mul_f64 v[210:211], v[208:209], s[0:1]
	v_fma_f64 v[212:213], v[4:5], s[4:5], v[210:211]
	v_fma_f64 v[210:211], v[4:5], s[4:5], -v[210:211]
	v_add_f64 v[10:11], v[212:213], v[10:11]
	v_mul_f64 v[212:213], v[6:7], s[4:5]
	v_add_f64 v[8:9], v[210:211], v[8:9]
	v_fma_f64 v[210:211], v[50:51], s[0:1], v[212:213]
	v_fma_f64 v[214:215], v[50:51], s[6:7], v[212:213]
	v_add_f64 v[12:13], v[210:211], v[12:13]
	v_mul_f64 v[210:211], v[208:209], s[50:51]
	v_add_f64 v[14:15], v[214:215], v[14:15]
	v_fma_f64 v[212:213], v[4:5], s[52:53], v[210:211]
	v_fma_f64 v[210:211], v[4:5], s[52:53], -v[210:211]
	v_add_f64 v[18:19], v[212:213], v[18:19]
	v_mul_f64 v[212:213], v[6:7], s[52:53]
	v_add_f64 v[16:17], v[210:211], v[16:17]
	v_fma_f64 v[214:215], v[50:51], s[54:55], v[212:213]
	v_fma_f64 v[210:211], v[50:51], s[50:51], v[212:213]
	v_mul_f64 v[212:213], v[208:209], s[36:37]
	v_add_f64 v[214:215], v[214:215], v[222:223]
	v_add_f64 v[210:211], v[210:211], v[218:219]
	v_fma_f64 v[216:217], v[4:5], s[28:29], v[212:213]
	v_fma_f64 v[212:213], v[4:5], s[28:29], -v[212:213]
	v_mul_f64 v[218:219], v[6:7], s[28:29]
	v_add_f64 v[216:217], v[216:217], v[224:225]
	v_add_f64 v[212:213], v[212:213], v[220:221]
	v_mul_f64 v[220:221], v[208:209], s[30:31]
	v_fma_f64 v[222:223], v[50:51], s[26:27], v[218:219]
	v_fma_f64 v[218:219], v[50:51], s[36:37], v[218:219]
	;; [unrolled: 1-line block ×3, first 2 shown]
	v_fma_f64 v[220:221], v[4:5], s[24:25], -v[220:221]
	v_add_f64 v[218:219], v[218:219], v[226:227]
	v_add_f64 v[222:223], v[222:223], v[230:231]
	;; [unrolled: 1-line block ×3, first 2 shown]
	v_mul_f64 v[224:225], v[6:7], s[24:25]
	v_add_f64 v[22:23], v[220:221], v[22:23]
	v_fma_f64 v[220:221], v[50:51], s[30:31], v[224:225]
	v_fma_f64 v[226:227], v[50:51], s[22:23], v[224:225]
	v_add_f64 v[174:175], v[220:221], v[174:175]
	v_mul_f64 v[220:221], v[208:209], s[14:15]
	v_add_f64 v[20:21], v[226:227], v[20:21]
	v_fma_f64 v[224:225], v[4:5], s[12:13], v[220:221]
	v_fma_f64 v[220:221], v[4:5], s[12:13], -v[220:221]
	v_add_f64 v[24:25], v[224:225], v[24:25]
	v_mul_f64 v[224:225], v[6:7], s[12:13]
	v_add_f64 v[30:31], v[220:221], v[30:31]
	v_fma_f64 v[220:221], v[50:51], s[14:15], v[224:225]
	v_fma_f64 v[226:227], v[50:51], s[18:19], v[224:225]
	v_add_f64 v[26:27], v[220:221], v[26:27]
	v_mul_f64 v[220:221], v[208:209], s[44:45]
	v_add_f64 v[28:29], v[226:227], v[28:29]
	v_fma_f64 v[224:225], v[4:5], s[46:47], v[220:221]
	v_fma_f64 v[220:221], v[4:5], s[46:47], -v[220:221]
	v_add_f64 v[32:33], v[224:225], v[32:33]
	v_mul_f64 v[224:225], v[6:7], s[46:47]
	v_add_f64 v[38:39], v[220:221], v[38:39]
	v_fma_f64 v[220:221], v[50:51], s[44:45], v[224:225]
	v_fma_f64 v[226:227], v[50:51], s[48:49], v[224:225]
	v_add_f64 v[34:35], v[220:221], v[34:35]
	v_mul_f64 v[220:221], v[208:209], s[42:43]
	v_mul_f64 v[208:209], v[208:209], s[34:35]
	v_add_f64 v[36:37], v[226:227], v[36:37]
	v_fma_f64 v[224:225], v[4:5], s[40:41], v[220:221]
	v_fma_f64 v[220:221], v[4:5], s[40:41], -v[220:221]
	v_add_f64 v[40:41], v[224:225], v[40:41]
	v_mul_f64 v[224:225], v[6:7], s[40:41]
	v_add_f64 v[46:47], v[220:221], v[46:47]
	v_mul_f64 v[6:7], v[6:7], s[20:21]
	v_fma_f64 v[220:221], v[50:51], s[42:43], v[224:225]
	v_fma_f64 v[226:227], v[50:51], s[38:39], v[224:225]
	;; [unrolled: 1-line block ×3, first 2 shown]
	v_add_f64 v[42:43], v[220:221], v[42:43]
	v_fma_f64 v[220:221], v[4:5], s[20:21], v[208:209]
	v_fma_f64 v[4:5], v[4:5], s[20:21], -v[208:209]
	v_add_f64 v[48:49], v[224:225], v[48:49]
	v_add_f64 v[44:45], v[226:227], v[44:45]
	v_add_f64 v[220:221], v[220:221], v[228:229]
	v_add_f64 v[0:1], v[4:5], v[0:1]
	v_fma_f64 v[4:5], v[50:51], s[34:35], v[6:7]
	v_add_f64 v[50:51], v[200:201], -v[204:205]
	v_add_f64 v[6:7], v[202:203], v[206:207]
	v_add_f64 v[2:3], v[4:5], v[2:3]
	;; [unrolled: 1-line block ×3, first 2 shown]
	v_add_f64 v[200:201], v[202:203], -v[206:207]
	v_mul_f64 v[202:203], v[200:201], s[26:27]
	v_fma_f64 v[204:205], v[4:5], s[28:29], v[202:203]
	v_fma_f64 v[202:203], v[4:5], s[28:29], -v[202:203]
	v_add_f64 v[10:11], v[204:205], v[10:11]
	v_mul_f64 v[204:205], v[6:7], s[28:29]
	v_add_f64 v[8:9], v[202:203], v[8:9]
	v_fma_f64 v[202:203], v[50:51], s[26:27], v[204:205]
	v_fma_f64 v[206:207], v[50:51], s[36:37], v[204:205]
	v_add_f64 v[12:13], v[202:203], v[12:13]
	v_mul_f64 v[202:203], v[200:201], s[48:49]
	v_add_f64 v[14:15], v[206:207], v[14:15]
	v_fma_f64 v[204:205], v[4:5], s[46:47], v[202:203]
	v_fma_f64 v[202:203], v[4:5], s[46:47], -v[202:203]
	v_add_f64 v[18:19], v[204:205], v[18:19]
	v_mul_f64 v[204:205], v[6:7], s[46:47]
	v_add_f64 v[16:17], v[202:203], v[16:17]
	v_fma_f64 v[206:207], v[50:51], s[44:45], v[204:205]
	v_fma_f64 v[202:203], v[50:51], s[48:49], v[204:205]
	v_mul_f64 v[204:205], v[200:201], s[34:35]
	v_add_f64 v[206:207], v[206:207], v[214:215]
	v_add_f64 v[202:203], v[202:203], v[210:211]
	v_fma_f64 v[208:209], v[4:5], s[20:21], v[204:205]
	v_fma_f64 v[204:205], v[4:5], s[20:21], -v[204:205]
	v_mul_f64 v[210:211], v[6:7], s[20:21]
	v_add_f64 v[208:209], v[208:209], v[216:217]
	v_add_f64 v[204:205], v[204:205], v[212:213]
	v_mul_f64 v[212:213], v[200:201], s[14:15]
	v_fma_f64 v[214:215], v[50:51], s[16:17], v[210:211]
	v_fma_f64 v[210:211], v[50:51], s[34:35], v[210:211]
	;; [unrolled: 1-line block ×3, first 2 shown]
	v_fma_f64 v[212:213], v[4:5], s[12:13], -v[212:213]
	v_add_f64 v[210:211], v[210:211], v[218:219]
	v_add_f64 v[214:215], v[214:215], v[222:223]
	v_add_f64 v[172:173], v[216:217], v[172:173]
	v_mul_f64 v[216:217], v[6:7], s[12:13]
	v_add_f64 v[22:23], v[212:213], v[22:23]
	v_fma_f64 v[212:213], v[50:51], s[14:15], v[216:217]
	v_fma_f64 v[218:219], v[50:51], s[18:19], v[216:217]
	v_add_f64 v[174:175], v[212:213], v[174:175]
	v_mul_f64 v[212:213], v[200:201], s[50:51]
	v_add_f64 v[20:21], v[218:219], v[20:21]
	v_fma_f64 v[216:217], v[4:5], s[52:53], v[212:213]
	v_fma_f64 v[212:213], v[4:5], s[52:53], -v[212:213]
	v_add_f64 v[24:25], v[216:217], v[24:25]
	v_mul_f64 v[216:217], v[6:7], s[52:53]
	v_add_f64 v[30:31], v[212:213], v[30:31]
	v_fma_f64 v[212:213], v[50:51], s[50:51], v[216:217]
	v_fma_f64 v[218:219], v[50:51], s[54:55], v[216:217]
	v_add_f64 v[26:27], v[212:213], v[26:27]
	v_mul_f64 v[212:213], v[200:201], s[6:7]
	v_add_f64 v[28:29], v[218:219], v[28:29]
	v_fma_f64 v[216:217], v[4:5], s[4:5], v[212:213]
	v_fma_f64 v[212:213], v[4:5], s[4:5], -v[212:213]
	v_add_f64 v[32:33], v[216:217], v[32:33]
	v_mul_f64 v[216:217], v[6:7], s[4:5]
	v_add_f64 v[38:39], v[212:213], v[38:39]
	v_fma_f64 v[212:213], v[50:51], s[6:7], v[216:217]
	v_fma_f64 v[218:219], v[50:51], s[0:1], v[216:217]
	v_add_f64 v[34:35], v[212:213], v[34:35]
	v_mul_f64 v[212:213], v[200:201], s[22:23]
	v_mul_f64 v[200:201], v[200:201], s[38:39]
	v_add_f64 v[36:37], v[218:219], v[36:37]
	v_fma_f64 v[216:217], v[4:5], s[24:25], v[212:213]
	v_fma_f64 v[212:213], v[4:5], s[24:25], -v[212:213]
	v_add_f64 v[40:41], v[216:217], v[40:41]
	v_mul_f64 v[216:217], v[6:7], s[24:25]
	v_add_f64 v[46:47], v[212:213], v[46:47]
	v_mul_f64 v[6:7], v[6:7], s[40:41]
	v_fma_f64 v[212:213], v[50:51], s[22:23], v[216:217]
	v_fma_f64 v[218:219], v[50:51], s[30:31], v[216:217]
	v_fma_f64 v[216:217], v[50:51], s[42:43], v[6:7]
	v_add_f64 v[42:43], v[212:213], v[42:43]
	v_fma_f64 v[212:213], v[4:5], s[40:41], v[200:201]
	v_fma_f64 v[4:5], v[4:5], s[40:41], -v[200:201]
	v_add_f64 v[48:49], v[216:217], v[48:49]
	v_add_f64 v[44:45], v[218:219], v[44:45]
	;; [unrolled: 1-line block ×4, first 2 shown]
	v_fma_f64 v[4:5], v[50:51], s[38:39], v[6:7]
	v_add_f64 v[50:51], v[192:193], -v[196:197]
	v_add_f64 v[6:7], v[194:195], v[198:199]
	v_add_f64 v[2:3], v[4:5], v[2:3]
	;; [unrolled: 1-line block ×3, first 2 shown]
	v_add_f64 v[192:193], v[194:195], -v[198:199]
	v_mul_f64 v[194:195], v[192:193], s[38:39]
	v_fma_f64 v[196:197], v[4:5], s[40:41], v[194:195]
	v_fma_f64 v[194:195], v[4:5], s[40:41], -v[194:195]
	v_add_f64 v[10:11], v[196:197], v[10:11]
	v_mul_f64 v[196:197], v[6:7], s[40:41]
	v_add_f64 v[8:9], v[194:195], v[8:9]
	v_fma_f64 v[194:195], v[50:51], s[38:39], v[196:197]
	v_fma_f64 v[198:199], v[50:51], s[42:43], v[196:197]
	v_add_f64 v[12:13], v[194:195], v[12:13]
	v_mul_f64 v[194:195], v[192:193], s[36:37]
	v_add_f64 v[14:15], v[198:199], v[14:15]
	v_fma_f64 v[196:197], v[4:5], s[28:29], v[194:195]
	v_fma_f64 v[194:195], v[4:5], s[28:29], -v[194:195]
	v_add_f64 v[18:19], v[196:197], v[18:19]
	v_mul_f64 v[196:197], v[6:7], s[28:29]
	v_add_f64 v[16:17], v[194:195], v[16:17]
	v_fma_f64 v[198:199], v[50:51], s[26:27], v[196:197]
	v_fma_f64 v[194:195], v[50:51], s[36:37], v[196:197]
	v_mul_f64 v[196:197], v[192:193], s[22:23]
	v_add_f64 v[198:199], v[198:199], v[206:207]
	v_add_f64 v[194:195], v[194:195], v[202:203]
	v_fma_f64 v[200:201], v[4:5], s[24:25], v[196:197]
	v_fma_f64 v[196:197], v[4:5], s[24:25], -v[196:197]
	v_mul_f64 v[202:203], v[6:7], s[24:25]
	v_add_f64 v[200:201], v[200:201], v[208:209]
	v_add_f64 v[196:197], v[196:197], v[204:205]
	v_mul_f64 v[204:205], v[192:193], s[44:45]
	v_fma_f64 v[206:207], v[50:51], s[30:31], v[202:203]
	v_fma_f64 v[202:203], v[50:51], s[22:23], v[202:203]
	;; [unrolled: 1-line block ×3, first 2 shown]
	v_fma_f64 v[204:205], v[4:5], s[46:47], -v[204:205]
	v_add_f64 v[202:203], v[202:203], v[210:211]
	v_add_f64 v[206:207], v[206:207], v[214:215]
	;; [unrolled: 1-line block ×3, first 2 shown]
	v_mul_f64 v[208:209], v[6:7], s[46:47]
	v_add_f64 v[22:23], v[204:205], v[22:23]
	v_fma_f64 v[204:205], v[50:51], s[44:45], v[208:209]
	v_fma_f64 v[210:211], v[50:51], s[48:49], v[208:209]
	v_add_f64 v[174:175], v[204:205], v[174:175]
	v_mul_f64 v[204:205], v[192:193], s[6:7]
	v_add_f64 v[20:21], v[210:211], v[20:21]
	v_fma_f64 v[208:209], v[4:5], s[4:5], v[204:205]
	v_fma_f64 v[204:205], v[4:5], s[4:5], -v[204:205]
	v_add_f64 v[24:25], v[208:209], v[24:25]
	v_mul_f64 v[208:209], v[6:7], s[4:5]
	v_add_f64 v[30:31], v[204:205], v[30:31]
	v_fma_f64 v[204:205], v[50:51], s[6:7], v[208:209]
	v_fma_f64 v[210:211], v[50:51], s[0:1], v[208:209]
	v_add_f64 v[26:27], v[204:205], v[26:27]
	v_mul_f64 v[204:205], v[192:193], s[16:17]
	v_add_f64 v[28:29], v[210:211], v[28:29]
	v_fma_f64 v[208:209], v[4:5], s[20:21], v[204:205]
	v_fma_f64 v[204:205], v[4:5], s[20:21], -v[204:205]
	v_add_f64 v[32:33], v[208:209], v[32:33]
	v_mul_f64 v[208:209], v[6:7], s[20:21]
	v_add_f64 v[38:39], v[204:205], v[38:39]
	v_fma_f64 v[204:205], v[50:51], s[16:17], v[208:209]
	v_fma_f64 v[210:211], v[50:51], s[34:35], v[208:209]
	v_add_f64 v[34:35], v[204:205], v[34:35]
	v_mul_f64 v[204:205], v[192:193], s[50:51]
	v_mul_f64 v[192:193], v[192:193], s[18:19]
	v_add_f64 v[36:37], v[210:211], v[36:37]
	v_fma_f64 v[208:209], v[4:5], s[52:53], v[204:205]
	v_fma_f64 v[204:205], v[4:5], s[52:53], -v[204:205]
	v_add_f64 v[40:41], v[208:209], v[40:41]
	v_mul_f64 v[208:209], v[6:7], s[52:53]
	v_add_f64 v[46:47], v[204:205], v[46:47]
	v_mul_f64 v[6:7], v[6:7], s[12:13]
	v_fma_f64 v[204:205], v[50:51], s[50:51], v[208:209]
	v_fma_f64 v[210:211], v[50:51], s[54:55], v[208:209]
	;; [unrolled: 1-line block ×3, first 2 shown]
	v_add_f64 v[42:43], v[204:205], v[42:43]
	v_fma_f64 v[204:205], v[4:5], s[12:13], v[192:193]
	v_fma_f64 v[4:5], v[4:5], s[12:13], -v[192:193]
	v_add_f64 v[48:49], v[208:209], v[48:49]
	v_add_f64 v[44:45], v[210:211], v[44:45]
	;; [unrolled: 1-line block ×4, first 2 shown]
	v_fma_f64 v[4:5], v[50:51], s[18:19], v[6:7]
	v_add_f64 v[50:51], v[184:185], -v[188:189]
	v_add_f64 v[6:7], v[186:187], v[190:191]
	v_add_f64 v[2:3], v[4:5], v[2:3]
	;; [unrolled: 1-line block ×3, first 2 shown]
	v_add_f64 v[184:185], v[186:187], -v[190:191]
	v_mul_f64 v[186:187], v[184:185], s[44:45]
	v_fma_f64 v[188:189], v[4:5], s[46:47], v[186:187]
	v_fma_f64 v[186:187], v[4:5], s[46:47], -v[186:187]
	v_add_f64 v[10:11], v[188:189], v[10:11]
	v_mul_f64 v[188:189], v[6:7], s[46:47]
	v_add_f64 v[8:9], v[186:187], v[8:9]
	v_fma_f64 v[186:187], v[50:51], s[44:45], v[188:189]
	v_fma_f64 v[190:191], v[50:51], s[48:49], v[188:189]
	v_add_f64 v[12:13], v[186:187], v[12:13]
	v_mul_f64 v[186:187], v[184:185], s[18:19]
	v_add_f64 v[14:15], v[190:191], v[14:15]
	v_fma_f64 v[188:189], v[4:5], s[12:13], v[186:187]
	v_fma_f64 v[186:187], v[4:5], s[12:13], -v[186:187]
	v_add_f64 v[18:19], v[188:189], v[18:19]
	v_mul_f64 v[188:189], v[6:7], s[12:13]
	v_add_f64 v[16:17], v[186:187], v[16:17]
	v_fma_f64 v[186:187], v[50:51], s[18:19], v[188:189]
	v_fma_f64 v[190:191], v[50:51], s[14:15], v[188:189]
	v_add_f64 v[192:193], v[186:187], v[194:195]
	v_mul_f64 v[186:187], v[184:185], s[0:1]
	v_add_f64 v[190:191], v[190:191], v[198:199]
	v_fma_f64 v[188:189], v[4:5], s[4:5], v[186:187]
	v_fma_f64 v[186:187], v[4:5], s[4:5], -v[186:187]
	v_add_f64 v[194:195], v[188:189], v[200:201]
	v_mul_f64 v[188:189], v[6:7], s[4:5]
	v_add_f64 v[196:197], v[186:187], v[196:197]
	v_fma_f64 v[186:187], v[50:51], s[0:1], v[188:189]
	v_fma_f64 v[198:199], v[50:51], s[6:7], v[188:189]
	v_add_f64 v[200:201], v[186:187], v[202:203]
	v_mul_f64 v[186:187], v[184:185], s[42:43]
	v_add_f64 v[198:199], v[198:199], v[206:207]
	v_fma_f64 v[188:189], v[4:5], s[40:41], v[186:187]
	v_fma_f64 v[186:187], v[4:5], s[40:41], -v[186:187]
	v_add_f64 v[172:173], v[188:189], v[172:173]
	v_mul_f64 v[188:189], v[6:7], s[40:41]
	v_add_f64 v[22:23], v[186:187], v[22:23]
	v_fma_f64 v[186:187], v[50:51], s[42:43], v[188:189]
	v_fma_f64 v[202:203], v[50:51], s[38:39], v[188:189]
	v_add_f64 v[174:175], v[186:187], v[174:175]
	v_mul_f64 v[186:187], v[184:185], s[22:23]
	v_add_f64 v[20:21], v[202:203], v[20:21]
	v_fma_f64 v[188:189], v[4:5], s[24:25], v[186:187]
	v_fma_f64 v[186:187], v[4:5], s[24:25], -v[186:187]
	v_add_f64 v[24:25], v[188:189], v[24:25]
	v_mul_f64 v[188:189], v[6:7], s[24:25]
	v_add_f64 v[30:31], v[186:187], v[30:31]
	v_fma_f64 v[186:187], v[50:51], s[22:23], v[188:189]
	v_fma_f64 v[202:203], v[50:51], s[30:31], v[188:189]
	v_add_f64 v[26:27], v[186:187], v[26:27]
	v_mul_f64 v[186:187], v[184:185], s[50:51]
	v_add_f64 v[28:29], v[202:203], v[28:29]
	v_fma_f64 v[188:189], v[4:5], s[52:53], v[186:187]
	v_fma_f64 v[186:187], v[4:5], s[52:53], -v[186:187]
	v_add_f64 v[32:33], v[188:189], v[32:33]
	v_mul_f64 v[188:189], v[6:7], s[52:53]
	v_add_f64 v[38:39], v[186:187], v[38:39]
	v_fma_f64 v[186:187], v[50:51], s[50:51], v[188:189]
	v_fma_f64 v[202:203], v[50:51], s[54:55], v[188:189]
	v_add_f64 v[34:35], v[186:187], v[34:35]
	v_mul_f64 v[186:187], v[184:185], s[34:35]
	v_mul_f64 v[184:185], v[184:185], s[26:27]
	v_add_f64 v[36:37], v[202:203], v[36:37]
	v_fma_f64 v[188:189], v[4:5], s[20:21], v[186:187]
	v_fma_f64 v[186:187], v[4:5], s[20:21], -v[186:187]
	v_add_f64 v[40:41], v[188:189], v[40:41]
	v_mul_f64 v[188:189], v[6:7], s[20:21]
	v_add_f64 v[46:47], v[186:187], v[46:47]
	v_mul_f64 v[6:7], v[6:7], s[28:29]
	v_fma_f64 v[186:187], v[50:51], s[34:35], v[188:189]
	v_fma_f64 v[202:203], v[50:51], s[16:17], v[188:189]
	v_add_f64 v[42:43], v[186:187], v[42:43]
	v_fma_f64 v[186:187], v[4:5], s[28:29], v[184:185]
	v_fma_f64 v[4:5], v[4:5], s[28:29], -v[184:185]
	v_add_f64 v[44:45], v[202:203], v[44:45]
	v_add_f64 v[232:233], v[186:187], v[204:205]
	;; [unrolled: 1-line block ×3, first 2 shown]
	v_fma_f64 v[4:5], v[50:51], s[26:27], v[6:7]
	v_fma_f64 v[186:187], v[50:51], s[36:37], v[6:7]
	v_add_f64 v[50:51], v[176:177], -v[180:181]
	v_add_f64 v[6:7], v[178:179], v[182:183]
	v_add_f64 v[2:3], v[4:5], v[2:3]
	;; [unrolled: 1-line block ×3, first 2 shown]
	v_mul_f64 v[180:181], v[234:235], s[50:51]
	v_add_f64 v[48:49], v[186:187], v[48:49]
	v_fma_f64 v[176:177], v[4:5], s[52:53], v[180:181]
	v_add_f64 v[176:177], v[176:177], v[10:11]
	v_mul_f64 v[10:11], v[6:7], s[52:53]
	v_fma_f64 v[178:179], v[50:51], s[54:55], v[10:11]
	v_add_f64 v[178:179], v[178:179], v[14:15]
	v_fma_f64 v[14:15], v[4:5], s[52:53], -v[180:181]
	v_add_f64 v[180:181], v[14:15], v[8:9]
	v_fma_f64 v[8:9], v[50:51], s[50:51], v[10:11]
	v_add_f64 v[182:183], v[8:9], v[12:13]
	v_mul_f64 v[8:9], v[234:235], s[30:31]
	v_fma_f64 v[10:11], v[4:5], s[24:25], v[8:9]
	v_fma_f64 v[8:9], v[4:5], s[24:25], -v[8:9]
	v_add_f64 v[184:185], v[10:11], v[18:19]
	v_mul_f64 v[10:11], v[6:7], s[24:25]
	v_add_f64 v[188:189], v[8:9], v[16:17]
	v_fma_f64 v[12:13], v[50:51], s[22:23], v[10:11]
	v_fma_f64 v[8:9], v[50:51], s[30:31], v[10:11]
	v_add_f64 v[186:187], v[12:13], v[190:191]
	v_add_f64 v[190:191], v[8:9], v[192:193]
	v_mul_f64 v[8:9], v[234:235], s[44:45]
	v_fma_f64 v[10:11], v[4:5], s[46:47], v[8:9]
	v_fma_f64 v[8:9], v[4:5], s[46:47], -v[8:9]
	v_add_f64 v[192:193], v[10:11], v[194:195]
	v_mul_f64 v[10:11], v[6:7], s[46:47]
	v_add_f64 v[196:197], v[8:9], v[196:197]
	v_fma_f64 v[12:13], v[50:51], s[48:49], v[10:11]
	v_fma_f64 v[8:9], v[50:51], s[44:45], v[10:11]
	v_add_f64 v[194:195], v[12:13], v[198:199]
	;; [unrolled: 10-line block ×3, first 2 shown]
	v_mul_f64 v[8:9], v[234:235], s[38:39]
	v_add_f64 v[202:203], v[12:13], v[20:21]
	v_fma_f64 v[10:11], v[4:5], s[40:41], v[8:9]
	v_fma_f64 v[8:9], v[4:5], s[40:41], -v[8:9]
	v_add_f64 v[208:209], v[10:11], v[24:25]
	v_mul_f64 v[10:11], v[6:7], s[40:41]
	v_add_f64 v[212:213], v[8:9], v[30:31]
	v_fma_f64 v[8:9], v[50:51], s[38:39], v[10:11]
	v_fma_f64 v[12:13], v[50:51], s[42:43], v[10:11]
	v_add_f64 v[214:215], v[8:9], v[26:27]
	v_mul_f64 v[8:9], v[234:235], s[18:19]
	v_add_f64 v[210:211], v[12:13], v[28:29]
	v_fma_f64 v[10:11], v[4:5], s[12:13], v[8:9]
	v_fma_f64 v[8:9], v[4:5], s[12:13], -v[8:9]
	v_add_f64 v[216:217], v[10:11], v[32:33]
	v_mul_f64 v[10:11], v[6:7], s[12:13]
	v_add_f64 v[220:221], v[8:9], v[38:39]
	v_fma_f64 v[8:9], v[50:51], s[18:19], v[10:11]
	v_fma_f64 v[12:13], v[50:51], s[14:15], v[10:11]
	v_add_f64 v[222:223], v[8:9], v[34:35]
	v_mul_f64 v[8:9], v[234:235], s[26:27]
	v_add_f64 v[218:219], v[12:13], v[36:37]
	v_fma_f64 v[10:11], v[4:5], s[28:29], v[8:9]
	v_fma_f64 v[8:9], v[4:5], s[28:29], -v[8:9]
	v_add_f64 v[224:225], v[10:11], v[40:41]
	v_mul_f64 v[10:11], v[6:7], s[28:29]
	v_add_f64 v[228:229], v[8:9], v[46:47]
	v_mul_f64 v[6:7], v[6:7], s[4:5]
	v_fma_f64 v[8:9], v[50:51], s[26:27], v[10:11]
	v_fma_f64 v[12:13], v[50:51], s[36:37], v[10:11]
	v_add_f64 v[230:231], v[8:9], v[42:43]
	v_mul_f64 v[8:9], v[234:235], s[6:7]
	v_add_f64 v[226:227], v[12:13], v[44:45]
	v_fma_f64 v[10:11], v[4:5], s[4:5], v[8:9]
	v_fma_f64 v[4:5], v[4:5], s[4:5], -v[8:9]
	v_add_f64 v[232:233], v[10:11], v[232:233]
	v_add_f64 v[244:245], v[4:5], v[0:1]
	v_fma_f64 v[0:1], v[50:51], s[6:7], v[6:7]
	v_fma_f64 v[10:11], v[50:51], s[0:1], v[6:7]
	v_add_f64 v[246:247], v[0:1], v[2:3]
	buffer_load_dword v0, off, s[64:67], 0 offset:208 ; 4-byte Folded Reload
	buffer_load_dword v1, off, s[64:67], 0 offset:212 ; 4-byte Folded Reload
	buffer_load_dword v2, off, s[64:67], 0 offset:216 ; 4-byte Folded Reload
	buffer_load_dword v3, off, s[64:67], 0 offset:220 ; 4-byte Folded Reload
	v_add_f64 v[234:235], v[10:11], v[48:49]
	s_waitcnt vmcnt(0)
	ds_write_b128 v243, v[0:3]
	ds_write_b128 v243, v[176:179] offset:16
	ds_write_b128 v243, v[184:187] offset:32
	;; [unrolled: 1-line block ×16, first 2 shown]
	s_waitcnt lgkmcnt(0)
	s_barrier
	ds_read_b128 v[172:175], v238
	ds_read_b128 v[176:179], v238 offset:544
	ds_read_b128 v[180:183], v238 offset:1088
	;; [unrolled: 1-line block ×16, first 2 shown]
	s_waitcnt lgkmcnt(14)
	v_mul_f64 v[4:5], v[118:119], v[182:183]
	v_mul_f64 v[2:3], v[122:123], v[176:177]
	;; [unrolled: 1-line block ×3, first 2 shown]
	s_waitcnt lgkmcnt(0)
	v_mul_f64 v[6:7], v[166:167], v[251:252]
	s_barrier
	v_fma_f64 v[188:189], v[116:117], v[180:181], v[4:5]
	v_mul_f64 v[4:5], v[118:119], v[180:181]
	v_fma_f64 v[2:3], v[120:121], v[178:179], -v[2:3]
	v_fma_f64 v[0:1], v[120:121], v[176:177], v[0:1]
	v_fma_f64 v[6:7], v[164:165], v[253:254], -v[6:7]
	v_fma_f64 v[186:187], v[116:117], v[182:183], -v[4:5]
	v_mul_f64 v[4:5], v[114:115], v[192:193]
	v_add_f64 v[10:11], v[174:175], v[2:3]
	v_add_f64 v[8:9], v[172:173], v[0:1]
	v_fma_f64 v[184:185], v[112:113], v[190:191], v[4:5]
	v_mul_f64 v[4:5], v[114:115], v[190:191]
	v_add_f64 v[10:11], v[10:11], v[186:187]
	v_add_f64 v[8:9], v[8:9], v[188:189]
	v_fma_f64 v[182:183], v[112:113], v[192:193], -v[4:5]
	v_mul_f64 v[4:5], v[110:111], v[196:197]
	v_add_f64 v[8:9], v[8:9], v[184:185]
	v_add_f64 v[10:11], v[10:11], v[182:183]
	v_fma_f64 v[180:181], v[108:109], v[194:195], v[4:5]
	v_mul_f64 v[4:5], v[110:111], v[194:195]
	v_add_f64 v[8:9], v[8:9], v[180:181]
	v_fma_f64 v[178:179], v[108:109], v[196:197], -v[4:5]
	v_mul_f64 v[4:5], v[138:139], v[200:201]
	v_add_f64 v[10:11], v[10:11], v[178:179]
	v_fma_f64 v[176:177], v[136:137], v[198:199], v[4:5]
	v_mul_f64 v[4:5], v[138:139], v[198:199]
	v_add_f64 v[8:9], v[8:9], v[176:177]
	v_fma_f64 v[138:139], v[136:137], v[200:201], -v[4:5]
	v_mul_f64 v[4:5], v[134:135], v[204:205]
	;; [unrolled: 6-line block ×12, first 2 shown]
	v_add_f64 v[10:11], v[10:11], v[150:151]
	v_fma_f64 v[4:5], v[164:165], v[251:252], v[4:5]
	v_add_f64 v[110:111], v[10:11], v[6:7]
	v_add_f64 v[10:11], v[2:3], v[6:7]
	;; [unrolled: 1-line block ×4, first 2 shown]
	v_add_f64 v[0:1], v[0:1], -v[4:5]
	v_add_f64 v[2:3], v[2:3], -v[6:7]
	v_mul_f64 v[12:13], v[10:11], s[24:25]
	v_mul_f64 v[20:21], v[10:11], s[20:21]
	;; [unrolled: 1-line block ×9, first 2 shown]
	v_fma_f64 v[14:15], v[0:1], s[30:31], v[12:13]
	v_fma_f64 v[12:13], v[0:1], s[22:23], v[12:13]
	v_mul_f64 v[16:17], v[2:3], s[16:17]
	v_fma_f64 v[22:23], v[0:1], s[34:35], v[20:21]
	v_fma_f64 v[20:21], v[0:1], s[16:17], v[20:21]
	v_mul_f64 v[24:25], v[2:3], s[14:15]
	;; [unrolled: 3-line block ×7, first 2 shown]
	v_fma_f64 v[168:169], v[0:1], s[54:55], v[10:11]
	v_fma_f64 v[0:1], v[0:1], s[50:51], v[10:11]
	v_add_f64 v[10:11], v[186:187], v[150:151]
	v_add_f64 v[150:151], v[186:187], -v[150:151]
	v_fma_f64 v[6:7], v[8:9], s[24:25], v[4:5]
	v_fma_f64 v[4:5], v[8:9], s[24:25], -v[4:5]
	v_fma_f64 v[18:19], v[8:9], s[20:21], v[16:17]
	v_fma_f64 v[16:17], v[8:9], s[20:21], -v[16:17]
	;; [unrolled: 2-line block ×8, first 2 shown]
	v_add_f64 v[8:9], v[188:189], v[152:153]
	v_mul_f64 v[170:171], v[150:151], s[16:17]
	v_add_f64 v[6:7], v[172:173], v[6:7]
	v_add_f64 v[4:5], v[172:173], v[4:5]
	;; [unrolled: 1-line block ×16, first 2 shown]
	v_fma_f64 v[172:173], v[8:9], s[20:21], v[170:171]
	v_add_f64 v[152:153], v[188:189], -v[152:153]
	v_fma_f64 v[170:171], v[8:9], s[20:21], -v[170:171]
	v_add_f64 v[12:13], v[174:175], v[12:13]
	v_add_f64 v[14:15], v[174:175], v[14:15]
	;; [unrolled: 1-line block ×6, first 2 shown]
	v_mul_f64 v[172:173], v[10:11], s[20:21]
	v_add_f64 v[4:5], v[170:171], v[4:5]
	v_add_f64 v[28:29], v[174:175], v[28:29]
	;; [unrolled: 1-line block ×7, first 2 shown]
	v_fma_f64 v[170:171], v[152:153], s[16:17], v[172:173]
	v_add_f64 v[154:155], v[174:175], v[154:155]
	v_add_f64 v[164:165], v[174:175], v[164:165]
	;; [unrolled: 1-line block ×5, first 2 shown]
	v_fma_f64 v[174:175], v[152:153], s[34:35], v[172:173]
	v_add_f64 v[12:13], v[170:171], v[12:13]
	v_mul_f64 v[170:171], v[150:151], s[0:1]
	v_add_f64 v[14:15], v[174:175], v[14:15]
	v_fma_f64 v[172:173], v[8:9], s[4:5], v[170:171]
	v_fma_f64 v[170:171], v[8:9], s[4:5], -v[170:171]
	v_add_f64 v[18:19], v[172:173], v[18:19]
	v_mul_f64 v[172:173], v[10:11], s[4:5]
	v_add_f64 v[16:17], v[170:171], v[16:17]
	v_fma_f64 v[170:171], v[152:153], s[0:1], v[172:173]
	v_fma_f64 v[174:175], v[152:153], s[6:7], v[172:173]
	v_add_f64 v[20:21], v[170:171], v[20:21]
	v_mul_f64 v[170:171], v[150:151], s[38:39]
	v_add_f64 v[22:23], v[174:175], v[22:23]
	v_fma_f64 v[172:173], v[8:9], s[40:41], v[170:171]
	v_fma_f64 v[170:171], v[8:9], s[40:41], -v[170:171]
	v_add_f64 v[26:27], v[172:173], v[26:27]
	v_mul_f64 v[172:173], v[10:11], s[40:41]
	v_add_f64 v[24:25], v[170:171], v[24:25]
	v_fma_f64 v[170:171], v[152:153], s[38:39], v[172:173]
	;; [unrolled: 10-line block ×5, first 2 shown]
	v_fma_f64 v[174:175], v[152:153], s[26:27], v[172:173]
	v_add_f64 v[154:155], v[170:171], v[154:155]
	v_mul_f64 v[170:171], v[150:151], s[18:19]
	v_mul_f64 v[150:151], v[150:151], s[30:31]
	v_add_f64 v[156:157], v[174:175], v[156:157]
	v_fma_f64 v[172:173], v[8:9], s[12:13], v[170:171]
	v_fma_f64 v[170:171], v[8:9], s[12:13], -v[170:171]
	v_add_f64 v[160:161], v[172:173], v[160:161]
	v_mul_f64 v[172:173], v[10:11], s[12:13]
	v_add_f64 v[158:159], v[170:171], v[158:159]
	v_mul_f64 v[10:11], v[10:11], s[24:25]
	v_fma_f64 v[170:171], v[152:153], s[18:19], v[172:173]
	v_fma_f64 v[174:175], v[152:153], s[14:15], v[172:173]
	v_add_f64 v[172:173], v[112:113], -v[114:115]
	v_add_f64 v[162:163], v[170:171], v[162:163]
	v_fma_f64 v[170:171], v[8:9], s[24:25], v[150:151]
	v_fma_f64 v[8:9], v[8:9], s[24:25], -v[150:151]
	v_add_f64 v[164:165], v[174:175], v[164:165]
	v_add_f64 v[174:175], v[116:117], -v[118:119]
	v_add_f64 v[166:167], v[170:171], v[166:167]
	v_fma_f64 v[170:171], v[152:153], s[22:23], v[10:11]
	v_add_f64 v[2:3], v[8:9], v[2:3]
	v_fma_f64 v[8:9], v[152:153], s[30:31], v[10:11]
	v_add_f64 v[10:11], v[182:183], v[146:147]
	v_add_f64 v[146:147], v[182:183], -v[146:147]
	v_add_f64 v[168:169], v[170:171], v[168:169]
	v_add_f64 v[0:1], v[8:9], v[0:1]
	;; [unrolled: 1-line block ×3, first 2 shown]
	v_mul_f64 v[150:151], v[146:147], s[14:15]
	v_add_f64 v[148:149], v[184:185], -v[148:149]
	v_fma_f64 v[152:153], v[8:9], s[12:13], v[150:151]
	v_fma_f64 v[150:151], v[8:9], s[12:13], -v[150:151]
	v_add_f64 v[6:7], v[152:153], v[6:7]
	v_mul_f64 v[152:153], v[10:11], s[12:13]
	v_add_f64 v[4:5], v[150:151], v[4:5]
	v_fma_f64 v[150:151], v[148:149], s[14:15], v[152:153]
	v_fma_f64 v[170:171], v[148:149], s[18:19], v[152:153]
	v_add_f64 v[12:13], v[150:151], v[12:13]
	v_mul_f64 v[150:151], v[146:147], s[38:39]
	v_add_f64 v[14:15], v[170:171], v[14:15]
	v_fma_f64 v[152:153], v[8:9], s[40:41], v[150:151]
	v_fma_f64 v[150:151], v[8:9], s[40:41], -v[150:151]
	v_add_f64 v[18:19], v[152:153], v[18:19]
	v_mul_f64 v[152:153], v[10:11], s[40:41]
	v_add_f64 v[16:17], v[150:151], v[16:17]
	v_fma_f64 v[150:151], v[148:149], s[38:39], v[152:153]
	v_fma_f64 v[170:171], v[148:149], s[42:43], v[152:153]
	v_add_f64 v[20:21], v[150:151], v[20:21]
	v_mul_f64 v[150:151], v[146:147], s[54:55]
	v_add_f64 v[22:23], v[170:171], v[22:23]
	;; [unrolled: 10-line block ×5, first 2 shown]
	v_fma_f64 v[152:153], v[8:9], s[24:25], v[150:151]
	v_fma_f64 v[150:151], v[8:9], s[24:25], -v[150:151]
	v_add_f64 v[50:51], v[152:153], v[50:51]
	v_mul_f64 v[152:153], v[10:11], s[24:25]
	v_add_f64 v[48:49], v[150:151], v[48:49]
	v_fma_f64 v[170:171], v[148:149], s[30:31], v[152:153]
	v_fma_f64 v[150:151], v[148:149], s[22:23], v[152:153]
	v_mul_f64 v[152:153], v[146:147], s[0:1]
	v_mul_f64 v[146:147], v[146:147], s[44:45]
	v_add_f64 v[156:157], v[170:171], v[156:157]
	v_add_f64 v[150:151], v[150:151], v[154:155]
	v_fma_f64 v[154:155], v[8:9], s[4:5], v[152:153]
	v_fma_f64 v[152:153], v[8:9], s[4:5], -v[152:153]
	v_add_f64 v[154:155], v[154:155], v[160:161]
	v_mul_f64 v[160:161], v[10:11], s[4:5]
	v_add_f64 v[152:153], v[152:153], v[158:159]
	v_mul_f64 v[10:11], v[10:11], s[46:47]
	v_fma_f64 v[170:171], v[148:149], s[6:7], v[160:161]
	v_fma_f64 v[158:159], v[148:149], s[0:1], v[160:161]
	;; [unrolled: 1-line block ×3, first 2 shown]
	v_fma_f64 v[8:9], v[8:9], s[46:47], -v[146:147]
	v_add_f64 v[164:165], v[170:171], v[164:165]
	v_add_f64 v[158:159], v[158:159], v[162:163]
	v_fma_f64 v[162:163], v[148:149], s[48:49], v[10:11]
	v_add_f64 v[2:3], v[8:9], v[2:3]
	v_fma_f64 v[8:9], v[148:149], s[44:45], v[10:11]
	v_add_f64 v[10:11], v[178:179], v[142:143]
	v_add_f64 v[142:143], v[178:179], -v[142:143]
	v_add_f64 v[160:161], v[160:161], v[166:167]
	v_add_f64 v[162:163], v[162:163], v[168:169]
	;; [unrolled: 1-line block ×4, first 2 shown]
	v_mul_f64 v[146:147], v[142:143], s[0:1]
	v_add_f64 v[144:145], v[180:181], -v[144:145]
	v_fma_f64 v[148:149], v[8:9], s[4:5], v[146:147]
	v_fma_f64 v[146:147], v[8:9], s[4:5], -v[146:147]
	v_add_f64 v[6:7], v[148:149], v[6:7]
	v_mul_f64 v[148:149], v[10:11], s[4:5]
	v_add_f64 v[4:5], v[146:147], v[4:5]
	v_fma_f64 v[146:147], v[144:145], s[0:1], v[148:149]
	v_fma_f64 v[166:167], v[144:145], s[6:7], v[148:149]
	v_add_f64 v[12:13], v[146:147], v[12:13]
	v_mul_f64 v[146:147], v[142:143], s[50:51]
	v_add_f64 v[14:15], v[166:167], v[14:15]
	v_fma_f64 v[148:149], v[8:9], s[52:53], v[146:147]
	v_fma_f64 v[146:147], v[8:9], s[52:53], -v[146:147]
	v_add_f64 v[18:19], v[148:149], v[18:19]
	v_mul_f64 v[148:149], v[10:11], s[52:53]
	v_add_f64 v[16:17], v[146:147], v[16:17]
	v_fma_f64 v[146:147], v[144:145], s[50:51], v[148:149]
	v_fma_f64 v[166:167], v[144:145], s[54:55], v[148:149]
	v_add_f64 v[20:21], v[146:147], v[20:21]
	v_mul_f64 v[146:147], v[142:143], s[36:37]
	v_add_f64 v[22:23], v[166:167], v[22:23]
	;; [unrolled: 10-line block ×5, first 2 shown]
	v_fma_f64 v[148:149], v[8:9], s[46:47], v[146:147]
	v_fma_f64 v[146:147], v[8:9], s[46:47], -v[146:147]
	v_add_f64 v[50:51], v[148:149], v[50:51]
	v_mul_f64 v[148:149], v[10:11], s[46:47]
	v_add_f64 v[48:49], v[146:147], v[48:49]
	v_fma_f64 v[166:167], v[144:145], s[48:49], v[148:149]
	v_fma_f64 v[146:147], v[144:145], s[44:45], v[148:149]
	v_mul_f64 v[148:149], v[142:143], s[42:43]
	v_mul_f64 v[142:143], v[142:143], s[34:35]
	v_add_f64 v[156:157], v[166:167], v[156:157]
	v_add_f64 v[146:147], v[146:147], v[150:151]
	v_fma_f64 v[150:151], v[8:9], s[40:41], v[148:149]
	v_fma_f64 v[148:149], v[8:9], s[40:41], -v[148:149]
	v_add_f64 v[150:151], v[150:151], v[154:155]
	v_mul_f64 v[154:155], v[10:11], s[40:41]
	v_add_f64 v[148:149], v[148:149], v[152:153]
	v_mul_f64 v[10:11], v[10:11], s[20:21]
	v_fma_f64 v[166:167], v[144:145], s[38:39], v[154:155]
	v_fma_f64 v[152:153], v[144:145], s[42:43], v[154:155]
	;; [unrolled: 1-line block ×3, first 2 shown]
	v_fma_f64 v[8:9], v[8:9], s[20:21], -v[142:143]
	v_add_f64 v[164:165], v[166:167], v[164:165]
	v_add_f64 v[152:153], v[152:153], v[158:159]
	v_fma_f64 v[158:159], v[144:145], s[16:17], v[10:11]
	v_add_f64 v[2:3], v[8:9], v[2:3]
	v_fma_f64 v[8:9], v[144:145], s[34:35], v[10:11]
	v_add_f64 v[10:11], v[138:139], v[130:131]
	v_add_f64 v[130:131], v[138:139], -v[130:131]
	v_add_f64 v[154:155], v[154:155], v[160:161]
	v_add_f64 v[158:159], v[158:159], v[162:163]
	;; [unrolled: 1-line block ×4, first 2 shown]
	v_mul_f64 v[138:139], v[130:131], s[26:27]
	v_add_f64 v[140:141], v[176:177], -v[140:141]
	v_fma_f64 v[142:143], v[8:9], s[28:29], v[138:139]
	v_fma_f64 v[138:139], v[8:9], s[28:29], -v[138:139]
	v_add_f64 v[6:7], v[142:143], v[6:7]
	v_mul_f64 v[142:143], v[10:11], s[28:29]
	v_add_f64 v[4:5], v[138:139], v[4:5]
	v_fma_f64 v[138:139], v[140:141], s[26:27], v[142:143]
	v_fma_f64 v[144:145], v[140:141], s[36:37], v[142:143]
	v_add_f64 v[12:13], v[138:139], v[12:13]
	v_mul_f64 v[138:139], v[130:131], s[48:49]
	v_add_f64 v[14:15], v[144:145], v[14:15]
	v_fma_f64 v[142:143], v[8:9], s[46:47], v[138:139]
	v_fma_f64 v[138:139], v[8:9], s[46:47], -v[138:139]
	v_add_f64 v[18:19], v[142:143], v[18:19]
	v_mul_f64 v[142:143], v[10:11], s[46:47]
	v_add_f64 v[16:17], v[138:139], v[16:17]
	v_fma_f64 v[138:139], v[140:141], s[48:49], v[142:143]
	v_fma_f64 v[144:145], v[140:141], s[44:45], v[142:143]
	v_add_f64 v[20:21], v[138:139], v[20:21]
	v_mul_f64 v[138:139], v[130:131], s[34:35]
	v_add_f64 v[22:23], v[144:145], v[22:23]
	;; [unrolled: 10-line block ×5, first 2 shown]
	v_fma_f64 v[142:143], v[8:9], s[4:5], v[138:139]
	v_fma_f64 v[138:139], v[8:9], s[4:5], -v[138:139]
	v_add_f64 v[50:51], v[142:143], v[50:51]
	v_mul_f64 v[142:143], v[10:11], s[4:5]
	v_add_f64 v[48:49], v[138:139], v[48:49]
	v_fma_f64 v[144:145], v[140:141], s[0:1], v[142:143]
	v_fma_f64 v[138:139], v[140:141], s[6:7], v[142:143]
	v_mul_f64 v[142:143], v[130:131], s[22:23]
	v_mul_f64 v[130:131], v[130:131], s[38:39]
	v_add_f64 v[144:145], v[144:145], v[156:157]
	v_add_f64 v[138:139], v[138:139], v[146:147]
	v_fma_f64 v[146:147], v[8:9], s[24:25], v[142:143]
	v_fma_f64 v[142:143], v[8:9], s[24:25], -v[142:143]
	v_add_f64 v[146:147], v[146:147], v[150:151]
	v_mul_f64 v[150:151], v[10:11], s[24:25]
	v_add_f64 v[142:143], v[142:143], v[148:149]
	v_mul_f64 v[10:11], v[10:11], s[40:41]
	v_fma_f64 v[156:157], v[140:141], s[30:31], v[150:151]
	v_fma_f64 v[148:149], v[140:141], s[22:23], v[150:151]
	;; [unrolled: 1-line block ×3, first 2 shown]
	v_fma_f64 v[8:9], v[8:9], s[40:41], -v[130:131]
	v_add_f64 v[156:157], v[156:157], v[164:165]
	v_add_f64 v[148:149], v[148:149], v[152:153]
	v_fma_f64 v[152:153], v[140:141], s[42:43], v[10:11]
	v_add_f64 v[2:3], v[8:9], v[2:3]
	v_fma_f64 v[8:9], v[140:141], s[38:39], v[10:11]
	v_add_f64 v[10:11], v[134:135], v[126:127]
	v_add_f64 v[126:127], v[134:135], -v[126:127]
	v_add_f64 v[150:151], v[150:151], v[154:155]
	v_add_f64 v[152:153], v[152:153], v[158:159]
	;; [unrolled: 1-line block ×4, first 2 shown]
	v_mul_f64 v[130:131], v[126:127], s[38:39]
	v_add_f64 v[128:129], v[136:137], -v[128:129]
	v_mul_f64 v[140:141], v[10:11], s[52:53]
	v_fma_f64 v[134:135], v[8:9], s[40:41], v[130:131]
	v_fma_f64 v[130:131], v[8:9], s[40:41], -v[130:131]
	v_add_f64 v[6:7], v[134:135], v[6:7]
	v_mul_f64 v[134:135], v[10:11], s[40:41]
	v_add_f64 v[4:5], v[130:131], v[4:5]
	v_fma_f64 v[130:131], v[128:129], s[38:39], v[134:135]
	v_fma_f64 v[136:137], v[128:129], s[42:43], v[134:135]
	v_add_f64 v[12:13], v[130:131], v[12:13]
	v_mul_f64 v[130:131], v[126:127], s[36:37]
	v_add_f64 v[14:15], v[136:137], v[14:15]
	v_fma_f64 v[134:135], v[8:9], s[28:29], v[130:131]
	v_fma_f64 v[130:131], v[8:9], s[28:29], -v[130:131]
	v_add_f64 v[18:19], v[134:135], v[18:19]
	v_mul_f64 v[134:135], v[10:11], s[28:29]
	v_add_f64 v[16:17], v[130:131], v[16:17]
	v_fma_f64 v[130:131], v[128:129], s[36:37], v[134:135]
	v_fma_f64 v[136:137], v[128:129], s[26:27], v[134:135]
	v_add_f64 v[20:21], v[130:131], v[20:21]
	v_mul_f64 v[130:131], v[126:127], s[22:23]
	v_add_f64 v[22:23], v[136:137], v[22:23]
	;; [unrolled: 10-line block ×5, first 2 shown]
	v_fma_f64 v[134:135], v[8:9], s[20:21], v[130:131]
	v_fma_f64 v[130:131], v[8:9], s[20:21], -v[130:131]
	v_add_f64 v[50:51], v[134:135], v[50:51]
	v_mul_f64 v[134:135], v[10:11], s[20:21]
	v_add_f64 v[48:49], v[130:131], v[48:49]
	v_mul_f64 v[10:11], v[10:11], s[12:13]
	v_fma_f64 v[136:137], v[128:129], s[34:35], v[134:135]
	v_fma_f64 v[130:131], v[128:129], s[16:17], v[134:135]
	v_mul_f64 v[134:135], v[126:127], s[50:51]
	v_mul_f64 v[126:127], v[126:127], s[18:19]
	v_add_f64 v[136:137], v[136:137], v[144:145]
	v_add_f64 v[130:131], v[130:131], v[138:139]
	v_fma_f64 v[138:139], v[8:9], s[52:53], v[134:135]
	v_fma_f64 v[134:135], v[8:9], s[52:53], -v[134:135]
	v_fma_f64 v[144:145], v[128:129], s[54:55], v[140:141]
	v_fma_f64 v[140:141], v[128:129], s[50:51], v[140:141]
	v_add_f64 v[138:139], v[138:139], v[146:147]
	v_add_f64 v[134:135], v[134:135], v[142:143]
	v_fma_f64 v[142:143], v[8:9], s[12:13], v[126:127]
	v_fma_f64 v[8:9], v[8:9], s[12:13], -v[126:127]
	v_fma_f64 v[146:147], v[128:129], s[14:15], v[10:11]
	v_add_f64 v[140:141], v[140:141], v[148:149]
	v_add_f64 v[144:145], v[144:145], v[156:157]
	;; [unrolled: 1-line block ×4, first 2 shown]
	v_fma_f64 v[8:9], v[128:129], s[18:19], v[10:11]
	v_add_f64 v[10:11], v[120:121], v[122:123]
	v_add_f64 v[120:121], v[120:121], -v[122:123]
	v_add_f64 v[146:147], v[146:147], v[152:153]
	v_add_f64 v[0:1], v[8:9], v[0:1]
	;; [unrolled: 1-line block ×3, first 2 shown]
	v_mul_f64 v[122:123], v[120:121], s[44:45]
	v_add_f64 v[124:125], v[132:133], -v[124:125]
	v_fma_f64 v[126:127], v[8:9], s[46:47], v[122:123]
	v_fma_f64 v[122:123], v[8:9], s[46:47], -v[122:123]
	v_add_f64 v[6:7], v[126:127], v[6:7]
	v_mul_f64 v[126:127], v[10:11], s[46:47]
	v_add_f64 v[4:5], v[122:123], v[4:5]
	v_fma_f64 v[122:123], v[124:125], s[44:45], v[126:127]
	v_fma_f64 v[128:129], v[124:125], s[48:49], v[126:127]
	v_add_f64 v[12:13], v[122:123], v[12:13]
	v_mul_f64 v[122:123], v[120:121], s[18:19]
	v_add_f64 v[14:15], v[128:129], v[14:15]
	v_fma_f64 v[126:127], v[8:9], s[12:13], v[122:123]
	v_fma_f64 v[122:123], v[8:9], s[12:13], -v[122:123]
	v_add_f64 v[18:19], v[126:127], v[18:19]
	v_mul_f64 v[126:127], v[10:11], s[12:13]
	v_add_f64 v[16:17], v[122:123], v[16:17]
	v_fma_f64 v[122:123], v[124:125], s[18:19], v[126:127]
	v_fma_f64 v[128:129], v[124:125], s[14:15], v[126:127]
	v_add_f64 v[20:21], v[122:123], v[20:21]
	v_mul_f64 v[122:123], v[120:121], s[0:1]
	v_add_f64 v[22:23], v[128:129], v[22:23]
	;; [unrolled: 10-line block ×5, first 2 shown]
	v_fma_f64 v[126:127], v[8:9], s[52:53], v[122:123]
	v_fma_f64 v[122:123], v[8:9], s[52:53], -v[122:123]
	v_add_f64 v[50:51], v[126:127], v[50:51]
	v_mul_f64 v[126:127], v[10:11], s[52:53]
	v_add_f64 v[48:49], v[122:123], v[48:49]
	v_fma_f64 v[122:123], v[124:125], s[50:51], v[126:127]
	v_fma_f64 v[128:129], v[124:125], s[54:55], v[126:127]
	v_add_f64 v[158:159], v[122:123], v[130:131]
	v_mul_f64 v[122:123], v[120:121], s[34:35]
	v_mul_f64 v[120:121], v[120:121], s[26:27]
	v_add_f64 v[154:155], v[128:129], v[136:137]
	v_fma_f64 v[126:127], v[8:9], s[20:21], v[122:123]
	v_fma_f64 v[122:123], v[8:9], s[20:21], -v[122:123]
	v_add_f64 v[160:161], v[126:127], v[138:139]
	v_mul_f64 v[126:127], v[10:11], s[20:21]
	v_add_f64 v[164:165], v[122:123], v[134:135]
	v_mul_f64 v[10:11], v[10:11], s[28:29]
	v_fma_f64 v[122:123], v[124:125], s[34:35], v[126:127]
	v_fma_f64 v[128:129], v[124:125], s[16:17], v[126:127]
	v_add_f64 v[166:167], v[122:123], v[140:141]
	v_fma_f64 v[122:123], v[8:9], s[28:29], v[120:121]
	v_fma_f64 v[8:9], v[8:9], s[28:29], -v[120:121]
	v_add_f64 v[162:163], v[128:129], v[144:145]
	v_add_f64 v[168:169], v[122:123], v[142:143]
	;; [unrolled: 1-line block ×3, first 2 shown]
	v_fma_f64 v[8:9], v[124:125], s[26:27], v[10:11]
	v_fma_f64 v[122:123], v[124:125], s[36:37], v[10:11]
	v_add_f64 v[10:11], v[112:113], v[114:115]
	v_mul_f64 v[112:113], v[172:173], s[50:51]
	v_add_f64 v[0:1], v[8:9], v[0:1]
	v_add_f64 v[8:9], v[116:117], v[118:119]
	;; [unrolled: 1-line block ×3, first 2 shown]
	v_fma_f64 v[114:115], v[8:9], s[52:53], v[112:113]
	v_add_f64 v[116:117], v[114:115], v[6:7]
	v_mul_f64 v[6:7], v[10:11], s[52:53]
	v_fma_f64 v[114:115], v[174:175], s[54:55], v[6:7]
	v_add_f64 v[118:119], v[114:115], v[14:15]
	v_fma_f64 v[14:15], v[8:9], s[52:53], -v[112:113]
	v_add_f64 v[112:113], v[14:15], v[4:5]
	v_fma_f64 v[4:5], v[174:175], s[50:51], v[6:7]
	v_add_f64 v[114:115], v[4:5], v[12:13]
	v_mul_f64 v[4:5], v[172:173], s[30:31]
	v_fma_f64 v[6:7], v[8:9], s[24:25], v[4:5]
	v_fma_f64 v[4:5], v[8:9], s[24:25], -v[4:5]
	v_add_f64 v[120:121], v[6:7], v[18:19]
	v_mul_f64 v[6:7], v[10:11], s[24:25]
	v_add_f64 v[124:125], v[4:5], v[16:17]
	v_fma_f64 v[4:5], v[174:175], s[30:31], v[6:7]
	v_fma_f64 v[12:13], v[174:175], s[22:23], v[6:7]
	v_add_f64 v[126:127], v[4:5], v[20:21]
	v_mul_f64 v[4:5], v[172:173], s[44:45]
	v_add_f64 v[122:123], v[12:13], v[22:23]
	v_fma_f64 v[6:7], v[8:9], s[46:47], v[4:5]
	v_fma_f64 v[4:5], v[8:9], s[46:47], -v[4:5]
	v_add_f64 v[128:129], v[6:7], v[26:27]
	v_mul_f64 v[6:7], v[10:11], s[46:47]
	v_add_f64 v[132:133], v[4:5], v[24:25]
	v_fma_f64 v[4:5], v[174:175], s[44:45], v[6:7]
	v_fma_f64 v[12:13], v[174:175], s[48:49], v[6:7]
	v_add_f64 v[134:135], v[4:5], v[28:29]
	v_mul_f64 v[4:5], v[172:173], s[34:35]
	v_add_f64 v[130:131], v[12:13], v[30:31]
	;; [unrolled: 10-line block ×6, first 2 shown]
	v_fma_f64 v[6:7], v[8:9], s[4:5], v[4:5]
	v_fma_f64 v[4:5], v[8:9], s[4:5], -v[4:5]
	v_add_f64 v[168:169], v[6:7], v[168:169]
	v_mul_f64 v[6:7], v[10:11], s[4:5]
	v_add_f64 v[172:173], v[4:5], v[2:3]
	v_fma_f64 v[10:11], v[174:175], s[0:1], v[6:7]
	v_fma_f64 v[2:3], v[174:175], s[6:7], v[6:7]
	v_add_f64 v[170:171], v[10:11], v[170:171]
	v_add_f64 v[174:175], v[2:3], v[0:1]
	ds_write_b128 v239, v[108:111]
	ds_write_b128 v239, v[116:119] offset:272
	ds_write_b128 v239, v[120:123] offset:544
	;; [unrolled: 1-line block ×16, first 2 shown]
	s_waitcnt lgkmcnt(0)
	s_barrier
	ds_read_b128 v[132:135], v238
	ds_read_b128 v[160:163], v238 offset:4624
	ds_read_b128 v[136:139], v238 offset:544
	;; [unrolled: 1-line block ×15, first 2 shown]
	s_and_saveexec_b64 s[0:1], vcc
	s_cbranch_execz .LBB0_7
; %bb.6:
	ds_read_b128 v[112:115], v238 offset:4352
	ds_read_b128 v[76:79], v238 offset:8976
.LBB0_7:
	s_or_b64 exec, exec, s[0:1]
	s_waitcnt lgkmcnt(10)
	v_mul_f64 v[8:9], v[86:87], v[170:171]
	v_mul_f64 v[10:11], v[86:87], v[168:169]
	;; [unrolled: 1-line block ×6, first 2 shown]
	s_waitcnt lgkmcnt(8)
	v_mul_f64 v[12:13], v[90:91], v[174:175]
	v_mul_f64 v[14:15], v[90:91], v[172:173]
	v_fma_f64 v[8:9], v[84:85], v[168:169], v[8:9]
	v_fma_f64 v[10:11], v[84:85], v[170:171], -v[10:11]
	s_waitcnt lgkmcnt(0)
	v_mul_f64 v[28:29], v[106:107], v[158:159]
	v_mul_f64 v[30:31], v[106:107], v[156:157]
	v_fma_f64 v[0:1], v[72:73], v[160:161], v[0:1]
	v_fma_f64 v[2:3], v[72:73], v[162:163], -v[2:3]
	v_fma_f64 v[4:5], v[80:81], v[164:165], v[4:5]
	v_fma_f64 v[6:7], v[80:81], v[166:167], -v[6:7]
	;; [unrolled: 2-line block ×3, first 2 shown]
	v_mul_f64 v[16:17], v[94:95], v[146:147]
	v_mul_f64 v[18:19], v[94:95], v[144:145]
	;; [unrolled: 1-line block ×6, first 2 shown]
	v_fma_f64 v[28:29], v[104:105], v[156:157], v[28:29]
	v_fma_f64 v[30:31], v[104:105], v[158:159], -v[30:31]
	v_add_f64 v[84:85], v[140:141], -v[8:9]
	v_add_f64 v[86:87], v[142:143], -v[10:11]
	v_fma_f64 v[16:17], v[92:93], v[144:145], v[16:17]
	v_fma_f64 v[18:19], v[92:93], v[146:147], -v[18:19]
	v_fma_f64 v[20:21], v[96:97], v[148:149], v[20:21]
	v_fma_f64 v[22:23], v[96:97], v[150:151], -v[22:23]
	;; [unrolled: 2-line block ×3, first 2 shown]
	v_add_f64 v[72:73], v[132:133], -v[0:1]
	v_add_f64 v[74:75], v[134:135], -v[2:3]
	v_add_f64 v[80:81], v[136:137], -v[4:5]
	v_add_f64 v[82:83], v[138:139], -v[6:7]
	v_add_f64 v[88:89], v[128:129], -v[12:13]
	v_add_f64 v[90:91], v[130:131], -v[14:15]
	v_fma_f64 v[100:101], v[140:141], 2.0, -v[84:85]
	v_fma_f64 v[102:103], v[142:143], 2.0, -v[86:87]
	v_add_f64 v[140:141], v[108:109], -v[28:29]
	v_add_f64 v[142:143], v[110:111], -v[30:31]
	v_fma_f64 v[92:93], v[132:133], 2.0, -v[72:73]
	v_fma_f64 v[94:95], v[134:135], 2.0, -v[74:75]
	;; [unrolled: 1-line block ×6, first 2 shown]
	v_add_f64 v[128:129], v[116:117], -v[16:17]
	v_add_f64 v[130:131], v[118:119], -v[18:19]
	;; [unrolled: 1-line block ×6, first 2 shown]
	v_fma_f64 v[108:109], v[108:109], 2.0, -v[140:141]
	v_fma_f64 v[110:111], v[110:111], 2.0, -v[142:143]
	v_add_u32_e32 v0, 0xcc0, v238
	v_fma_f64 v[116:117], v[116:117], 2.0, -v[128:129]
	v_fma_f64 v[118:119], v[118:119], 2.0, -v[130:131]
	;; [unrolled: 1-line block ×6, first 2 shown]
	ds_write_b128 v238, v[92:95]
	ds_write_b128 v240, v[72:75] offset:4624
	ds_write_b128 v238, v[96:99] offset:544
	;; [unrolled: 1-line block ×14, first 2 shown]
	v_add_u32_e32 v0, 0xee0, v238
	ds_write_b128 v0, v[140:143] offset:4624
	s_and_saveexec_b64 s[0:1], vcc
	s_cbranch_execz .LBB0_9
; %bb.8:
	v_mul_f64 v[0:1], v[70:71], v[76:77]
	v_mul_f64 v[2:3], v[70:71], v[78:79]
	v_fma_f64 v[0:1], v[68:69], v[78:79], -v[0:1]
	v_fma_f64 v[2:3], v[68:69], v[76:77], v[2:3]
	v_add_f64 v[70:71], v[114:115], -v[0:1]
	v_add_f64 v[68:69], v[112:113], -v[2:3]
	v_fma_f64 v[74:75], v[114:115], 2.0, -v[70:71]
	v_fma_f64 v[72:73], v[112:113], 2.0, -v[68:69]
	ds_write_b128 v238, v[72:75] offset:4352
	ds_write_b128 v240, v[68:71] offset:8976
.LBB0_9:
	s_or_b64 exec, exec, s[0:1]
	s_waitcnt lgkmcnt(0)
	s_barrier
	ds_read_b128 v[68:71], v238
	ds_read_b128 v[72:75], v238 offset:544
	buffer_load_dword v8, off, s[64:67], 0  ; 4-byte Folded Reload
	buffer_load_dword v9, off, s[64:67], 0 offset:4 ; 4-byte Folded Reload
	buffer_load_dword v10, off, s[64:67], 0 offset:8 ; 4-byte Folded Reload
	;; [unrolled: 1-line block ×3, first 2 shown]
	v_mad_u64_u32 v[4:5], s[0:1], s10, v236, 0
	v_mov_b32_e32 v12, s3
	s_mul_hi_u32 s3, s8, 0x220
	v_mad_u64_u32 v[5:6], s[0:1], s11, v236, v[5:6]
	v_mad_u64_u32 v[6:7], s[0:1], s8, v237, 0
	v_lshlrev_b64 v[4:5], 4, v[4:5]
	v_add_co_u32_e32 v13, vcc, s2, v4
	v_addc_co_u32_e32 v12, vcc, v12, v5, vcc
	s_mul_i32 s2, s9, 0x220
	s_add_i32 s2, s3, s2
	s_mul_i32 s3, s8, 0x220
	v_mov_b32_e32 v14, s2
	s_waitcnt vmcnt(0) lgkmcnt(1)
	v_mul_f64 v[0:1], v[10:11], v[70:71]
	v_mul_f64 v[2:3], v[10:11], v[68:69]
	s_waitcnt lgkmcnt(0)
	v_mul_f64 v[10:11], v[66:67], v[72:73]
	v_fma_f64 v[0:1], v[8:9], v[68:69], v[0:1]
	v_fma_f64 v[2:3], v[8:9], v[70:71], -v[2:3]
	v_mad_u64_u32 v[7:8], s[0:1], s9, v237, v[7:8]
	v_mul_f64 v[8:9], v[66:67], v[74:75]
	s_mov_b32 s0, 0xd10d4986
	s_mov_b32 s1, 0x3f5c5894
	v_lshlrev_b64 v[4:5], 4, v[6:7]
	v_mul_f64 v[0:1], v[0:1], s[0:1]
	v_mul_f64 v[2:3], v[2:3], s[0:1]
	v_add_co_u32_e32 v4, vcc, v13, v4
	v_fma_f64 v[6:7], v[64:65], v[72:73], v[8:9]
	v_fma_f64 v[8:9], v[64:65], v[74:75], -v[10:11]
	ds_read_b128 v[64:67], v238 offset:1088
	ds_read_b128 v[68:71], v238 offset:1632
	v_addc_co_u32_e32 v5, vcc, v12, v5, vcc
	global_store_dwordx4 v[4:5], v[0:3], off
	s_waitcnt lgkmcnt(1)
	v_mul_f64 v[10:11], v[62:63], v[64:65]
	v_mul_f64 v[0:1], v[6:7], s[0:1]
	;; [unrolled: 1-line block ×4, first 2 shown]
	v_add_co_u32_e32 v4, vcc, s3, v4
	v_addc_co_u32_e32 v5, vcc, v5, v14, vcc
	v_fma_f64 v[8:9], v[60:61], v[66:67], -v[10:11]
	s_waitcnt lgkmcnt(0)
	v_mul_f64 v[10:11], v[58:59], v[70:71]
	v_fma_f64 v[6:7], v[60:61], v[64:65], v[6:7]
	global_store_dwordx4 v[4:5], v[0:3], off
	v_add_co_u32_e32 v4, vcc, s3, v4
	v_addc_co_u32_e32 v5, vcc, v5, v14, vcc
	v_mul_f64 v[2:3], v[8:9], s[0:1]
	v_mul_f64 v[12:13], v[58:59], v[68:69]
	;; [unrolled: 1-line block ×3, first 2 shown]
	ds_read_b128 v[58:61], v238 offset:2176
	ds_read_b128 v[62:65], v238 offset:2720
	v_fma_f64 v[6:7], v[56:57], v[68:69], v[10:11]
	s_waitcnt lgkmcnt(1)
	v_mul_f64 v[10:11], v[54:55], v[60:61]
	v_fma_f64 v[8:9], v[56:57], v[70:71], -v[12:13]
	global_store_dwordx4 v[4:5], v[0:3], off
	buffer_load_dword v15, off, s[64:67], 0 offset:192 ; 4-byte Folded Reload
	buffer_load_dword v16, off, s[64:67], 0 offset:196 ; 4-byte Folded Reload
	;; [unrolled: 1-line block ×4, first 2 shown]
	v_mul_f64 v[12:13], v[54:55], v[58:59]
	v_mul_f64 v[0:1], v[6:7], s[0:1]
	v_add_co_u32_e32 v4, vcc, s3, v4
	v_fma_f64 v[6:7], v[52:53], v[58:59], v[10:11]
	v_mul_f64 v[2:3], v[8:9], s[0:1]
	v_addc_co_u32_e32 v5, vcc, v5, v14, vcc
	v_fma_f64 v[8:9], v[52:53], v[60:61], -v[12:13]
	ds_read_b128 v[50:53], v238 offset:3264
	ds_read_b128 v[54:57], v238 offset:3808
	global_store_dwordx4 v[4:5], v[0:3], off
	s_nop 0
	v_mul_f64 v[0:1], v[6:7], s[0:1]
	v_add_co_u32_e32 v4, vcc, s3, v4
	v_mul_f64 v[2:3], v[8:9], s[0:1]
	v_addc_co_u32_e32 v5, vcc, v5, v14, vcc
	s_waitcnt vmcnt(1) lgkmcnt(2)
	v_mul_f64 v[10:11], v[17:18], v[64:65]
	v_mul_f64 v[12:13], v[17:18], v[62:63]
	v_fma_f64 v[6:7], v[15:16], v[62:63], v[10:11]
	v_fma_f64 v[8:9], v[15:16], v[64:65], -v[12:13]
	buffer_load_dword v15, off, s[64:67], 0 offset:96 ; 4-byte Folded Reload
	buffer_load_dword v16, off, s[64:67], 0 offset:100 ; 4-byte Folded Reload
	;; [unrolled: 1-line block ×4, first 2 shown]
	s_waitcnt vmcnt(0) lgkmcnt(1)
	v_mul_f64 v[10:11], v[17:18], v[52:53]
	v_mul_f64 v[12:13], v[17:18], v[50:51]
	global_store_dwordx4 v[4:5], v[0:3], off
	v_add_co_u32_e32 v4, vcc, s3, v4
	v_mul_f64 v[0:1], v[6:7], s[0:1]
	v_mul_f64 v[2:3], v[8:9], s[0:1]
	v_addc_co_u32_e32 v5, vcc, v5, v14, vcc
	v_fma_f64 v[6:7], v[15:16], v[50:51], v[10:11]
	v_fma_f64 v[8:9], v[15:16], v[52:53], -v[12:13]
	buffer_load_dword v15, off, s[64:67], 0 offset:32 ; 4-byte Folded Reload
	buffer_load_dword v16, off, s[64:67], 0 offset:36 ; 4-byte Folded Reload
	buffer_load_dword v17, off, s[64:67], 0 offset:40 ; 4-byte Folded Reload
	buffer_load_dword v18, off, s[64:67], 0 offset:44 ; 4-byte Folded Reload
	ds_read_b128 v[24:27], v238 offset:4352
	global_store_dwordx4 v[4:5], v[0:3], off
	v_add_co_u32_e32 v4, vcc, s3, v4
	v_mul_f64 v[0:1], v[6:7], s[0:1]
	v_mul_f64 v[2:3], v[8:9], s[0:1]
	s_waitcnt vmcnt(1) lgkmcnt(1)
	v_mul_f64 v[10:11], v[17:18], v[56:57]
	v_mul_f64 v[12:13], v[17:18], v[54:55]
	v_mov_b32_e32 v18, s2
	v_addc_co_u32_e32 v5, vcc, v5, v18, vcc
	v_fma_f64 v[6:7], v[15:16], v[54:55], v[10:11]
	ds_read_b128 v[8:11], v238 offset:4896
	buffer_load_dword v19, off, s[64:67], 0 offset:176 ; 4-byte Folded Reload
	buffer_load_dword v20, off, s[64:67], 0 offset:180 ; 4-byte Folded Reload
	;; [unrolled: 1-line block ×4, first 2 shown]
	v_fma_f64 v[12:13], v[15:16], v[56:57], -v[12:13]
	global_store_dwordx4 v[4:5], v[0:3], off
	v_add_co_u32_e32 v4, vcc, s3, v4
	v_addc_co_u32_e32 v5, vcc, v5, v18, vcc
	v_mul_f64 v[0:1], v[6:7], s[0:1]
	v_mul_f64 v[2:3], v[12:13], s[0:1]
	s_waitcnt vmcnt(1) lgkmcnt(1)
	v_mul_f64 v[14:15], v[21:22], v[26:27]
	v_mul_f64 v[16:17], v[21:22], v[24:25]
	v_fma_f64 v[6:7], v[19:20], v[24:25], v[14:15]
	v_fma_f64 v[12:13], v[19:20], v[26:27], -v[16:17]
	buffer_load_dword v19, off, s[64:67], 0 offset:80 ; 4-byte Folded Reload
	buffer_load_dword v20, off, s[64:67], 0 offset:84 ; 4-byte Folded Reload
	;; [unrolled: 1-line block ×4, first 2 shown]
	s_waitcnt vmcnt(0) lgkmcnt(0)
	v_mul_f64 v[14:15], v[21:22], v[10:11]
	v_mul_f64 v[16:17], v[21:22], v[8:9]
	global_store_dwordx4 v[4:5], v[0:3], off
	ds_read_b128 v[22:25], v238 offset:5440
	v_mul_f64 v[0:1], v[6:7], s[0:1]
	v_mul_f64 v[2:3], v[12:13], s[0:1]
	v_add_co_u32_e32 v4, vcc, s3, v4
	v_fma_f64 v[6:7], v[19:20], v[8:9], v[14:15]
	v_fma_f64 v[12:13], v[19:20], v[10:11], -v[16:17]
	ds_read_b128 v[8:11], v238 offset:5984
	buffer_load_dword v26, off, s[64:67], 0 offset:160 ; 4-byte Folded Reload
	buffer_load_dword v27, off, s[64:67], 0 offset:164 ; 4-byte Folded Reload
	;; [unrolled: 1-line block ×4, first 2 shown]
	v_addc_co_u32_e32 v5, vcc, v5, v18, vcc
	global_store_dwordx4 v[4:5], v[0:3], off
	v_add_co_u32_e32 v4, vcc, s3, v4
	v_mul_f64 v[0:1], v[6:7], s[0:1]
	v_mul_f64 v[2:3], v[12:13], s[0:1]
	v_addc_co_u32_e32 v5, vcc, v5, v18, vcc
	s_waitcnt vmcnt(1) lgkmcnt(1)
	v_mul_f64 v[14:15], v[28:29], v[24:25]
	v_mul_f64 v[16:17], v[28:29], v[22:23]
	v_fma_f64 v[6:7], v[26:27], v[22:23], v[14:15]
	v_fma_f64 v[12:13], v[26:27], v[24:25], -v[16:17]
	buffer_load_dword v23, off, s[64:67], 0 offset:64 ; 4-byte Folded Reload
	buffer_load_dword v24, off, s[64:67], 0 offset:68 ; 4-byte Folded Reload
	;; [unrolled: 1-line block ×4, first 2 shown]
	ds_read_b128 v[18:21], v238 offset:6528
	global_store_dwordx4 v[4:5], v[0:3], off
	v_mov_b32_e32 v22, s2
	v_add_co_u32_e32 v4, vcc, s3, v4
	v_mul_f64 v[0:1], v[6:7], s[0:1]
	v_mul_f64 v[2:3], v[12:13], s[0:1]
	v_addc_co_u32_e32 v5, vcc, v5, v22, vcc
	s_waitcnt vmcnt(1) lgkmcnt(1)
	v_mul_f64 v[14:15], v[25:26], v[10:11]
	v_mul_f64 v[16:17], v[25:26], v[8:9]
	v_fma_f64 v[6:7], v[23:24], v[8:9], v[14:15]
	v_fma_f64 v[12:13], v[23:24], v[10:11], -v[16:17]
	ds_read_b128 v[8:11], v238 offset:7072
	buffer_load_dword v23, off, s[64:67], 0 offset:144 ; 4-byte Folded Reload
	buffer_load_dword v24, off, s[64:67], 0 offset:148 ; 4-byte Folded Reload
	;; [unrolled: 1-line block ×4, first 2 shown]
	s_waitcnt vmcnt(0) lgkmcnt(1)
	v_mul_f64 v[14:15], v[25:26], v[20:21]
	v_mul_f64 v[16:17], v[25:26], v[18:19]
	global_store_dwordx4 v[4:5], v[0:3], off
	v_add_co_u32_e32 v4, vcc, s3, v4
	v_mul_f64 v[0:1], v[6:7], s[0:1]
	v_mul_f64 v[2:3], v[12:13], s[0:1]
	v_addc_co_u32_e32 v5, vcc, v5, v22, vcc
	v_fma_f64 v[6:7], v[23:24], v[18:19], v[14:15]
	v_fma_f64 v[12:13], v[23:24], v[20:21], -v[16:17]
	buffer_load_dword v23, off, s[64:67], 0 offset:48 ; 4-byte Folded Reload
	buffer_load_dword v24, off, s[64:67], 0 offset:52 ; 4-byte Folded Reload
	;; [unrolled: 1-line block ×4, first 2 shown]
	ds_read_b128 v[14:17], v238 offset:7616
	global_store_dwordx4 v[4:5], v[0:3], off
	v_add_co_u32_e32 v4, vcc, s3, v4
	v_mul_f64 v[0:1], v[6:7], s[0:1]
	v_mul_f64 v[2:3], v[12:13], s[0:1]
	v_addc_co_u32_e32 v5, vcc, v5, v22, vcc
	s_waitcnt vmcnt(1) lgkmcnt(1)
	v_mul_f64 v[18:19], v[25:26], v[10:11]
	v_mul_f64 v[20:21], v[25:26], v[8:9]
	v_fma_f64 v[6:7], v[23:24], v[8:9], v[18:19]
	v_fma_f64 v[12:13], v[23:24], v[10:11], -v[20:21]
	ds_read_b128 v[8:11], v238 offset:8160
	buffer_load_dword v23, off, s[64:67], 0 offset:128 ; 4-byte Folded Reload
	buffer_load_dword v24, off, s[64:67], 0 offset:132 ; 4-byte Folded Reload
	;; [unrolled: 1-line block ×4, first 2 shown]
	s_waitcnt vmcnt(0) lgkmcnt(1)
	v_mul_f64 v[18:19], v[25:26], v[16:17]
	global_store_dwordx4 v[4:5], v[0:3], off
	v_mul_f64 v[20:21], v[25:26], v[14:15]
	v_mul_f64 v[0:1], v[6:7], s[0:1]
	;; [unrolled: 1-line block ×3, first 2 shown]
	v_add_co_u32_e32 v4, vcc, s3, v4
	v_addc_co_u32_e32 v5, vcc, v5, v22, vcc
	v_fma_f64 v[6:7], v[23:24], v[14:15], v[18:19]
	ds_read_b128 v[12:15], v238 offset:8704
	buffer_load_dword v26, off, s[64:67], 0 offset:16 ; 4-byte Folded Reload
	buffer_load_dword v27, off, s[64:67], 0 offset:20 ; 4-byte Folded Reload
	;; [unrolled: 1-line block ×4, first 2 shown]
	v_fma_f64 v[16:17], v[23:24], v[16:17], -v[20:21]
	s_waitcnt vmcnt(0) lgkmcnt(1)
	v_mul_f64 v[18:19], v[28:29], v[10:11]
	v_mul_f64 v[20:21], v[28:29], v[8:9]
	buffer_load_dword v28, off, s[64:67], 0 offset:112 ; 4-byte Folded Reload
	buffer_load_dword v29, off, s[64:67], 0 offset:116 ; 4-byte Folded Reload
	buffer_load_dword v30, off, s[64:67], 0 offset:120 ; 4-byte Folded Reload
	buffer_load_dword v31, off, s[64:67], 0 offset:124 ; 4-byte Folded Reload
	s_waitcnt vmcnt(0) lgkmcnt(0)
	v_mul_f64 v[22:23], v[30:31], v[14:15]
	v_mul_f64 v[24:25], v[30:31], v[12:13]
	global_store_dwordx4 v[4:5], v[0:3], off
	s_nop 0
	v_mul_f64 v[0:1], v[6:7], s[0:1]
	v_mul_f64 v[2:3], v[16:17], s[0:1]
	v_fma_f64 v[6:7], v[26:27], v[8:9], v[18:19]
	v_fma_f64 v[8:9], v[26:27], v[10:11], -v[20:21]
	v_fma_f64 v[10:11], v[28:29], v[12:13], v[22:23]
	v_fma_f64 v[12:13], v[28:29], v[14:15], -v[24:25]
	v_mov_b32_e32 v16, s2
	v_add_co_u32_e32 v14, vcc, s3, v4
	v_addc_co_u32_e32 v15, vcc, v5, v16, vcc
	global_store_dwordx4 v[14:15], v[0:3], off
	v_mul_f64 v[4:5], v[10:11], s[0:1]
	v_mul_f64 v[0:1], v[6:7], s[0:1]
	;; [unrolled: 1-line block ×4, first 2 shown]
	v_mov_b32_e32 v9, s2
	v_add_co_u32_e32 v8, vcc, s3, v14
	v_addc_co_u32_e32 v9, vcc, v15, v9, vcc
	global_store_dwordx4 v[8:9], v[0:3], off
	s_nop 0
	v_mov_b32_e32 v1, s2
	v_add_co_u32_e32 v0, vcc, s3, v8
	v_addc_co_u32_e32 v1, vcc, v9, v1, vcc
	global_store_dwordx4 v[0:1], v[4:7], off
.LBB0_10:
	s_endpgm
	.section	.rodata,"a",@progbits
	.p2align	6, 0x0
	.amdhsa_kernel bluestein_single_fwd_len578_dim1_dp_op_CI_CI
		.amdhsa_group_segment_fixed_size 64736
		.amdhsa_private_segment_fixed_size 228
		.amdhsa_kernarg_size 104
		.amdhsa_user_sgpr_count 6
		.amdhsa_user_sgpr_private_segment_buffer 1
		.amdhsa_user_sgpr_dispatch_ptr 0
		.amdhsa_user_sgpr_queue_ptr 0
		.amdhsa_user_sgpr_kernarg_segment_ptr 1
		.amdhsa_user_sgpr_dispatch_id 0
		.amdhsa_user_sgpr_flat_scratch_init 0
		.amdhsa_user_sgpr_private_segment_size 0
		.amdhsa_uses_dynamic_stack 0
		.amdhsa_system_sgpr_private_segment_wavefront_offset 1
		.amdhsa_system_sgpr_workgroup_id_x 1
		.amdhsa_system_sgpr_workgroup_id_y 0
		.amdhsa_system_sgpr_workgroup_id_z 0
		.amdhsa_system_sgpr_workgroup_info 0
		.amdhsa_system_vgpr_workitem_id 0
		.amdhsa_next_free_vgpr 256
		.amdhsa_next_free_sgpr 68
		.amdhsa_reserve_vcc 1
		.amdhsa_reserve_flat_scratch 0
		.amdhsa_float_round_mode_32 0
		.amdhsa_float_round_mode_16_64 0
		.amdhsa_float_denorm_mode_32 3
		.amdhsa_float_denorm_mode_16_64 3
		.amdhsa_dx10_clamp 1
		.amdhsa_ieee_mode 1
		.amdhsa_fp16_overflow 0
		.amdhsa_exception_fp_ieee_invalid_op 0
		.amdhsa_exception_fp_denorm_src 0
		.amdhsa_exception_fp_ieee_div_zero 0
		.amdhsa_exception_fp_ieee_overflow 0
		.amdhsa_exception_fp_ieee_underflow 0
		.amdhsa_exception_fp_ieee_inexact 0
		.amdhsa_exception_int_div_zero 0
	.end_amdhsa_kernel
	.text
.Lfunc_end0:
	.size	bluestein_single_fwd_len578_dim1_dp_op_CI_CI, .Lfunc_end0-bluestein_single_fwd_len578_dim1_dp_op_CI_CI
                                        ; -- End function
	.section	.AMDGPU.csdata,"",@progbits
; Kernel info:
; codeLenInByte = 32840
; NumSgprs: 72
; NumVgprs: 256
; ScratchSize: 228
; MemoryBound: 0
; FloatMode: 240
; IeeeMode: 1
; LDSByteSize: 64736 bytes/workgroup (compile time only)
; SGPRBlocks: 8
; VGPRBlocks: 63
; NumSGPRsForWavesPerEU: 72
; NumVGPRsForWavesPerEU: 256
; Occupancy: 1
; WaveLimiterHint : 1
; COMPUTE_PGM_RSRC2:SCRATCH_EN: 1
; COMPUTE_PGM_RSRC2:USER_SGPR: 6
; COMPUTE_PGM_RSRC2:TRAP_HANDLER: 0
; COMPUTE_PGM_RSRC2:TGID_X_EN: 1
; COMPUTE_PGM_RSRC2:TGID_Y_EN: 0
; COMPUTE_PGM_RSRC2:TGID_Z_EN: 0
; COMPUTE_PGM_RSRC2:TIDIG_COMP_CNT: 0
	.type	__hip_cuid_3cf6a845eb9aef19,@object ; @__hip_cuid_3cf6a845eb9aef19
	.section	.bss,"aw",@nobits
	.globl	__hip_cuid_3cf6a845eb9aef19
__hip_cuid_3cf6a845eb9aef19:
	.byte	0                               ; 0x0
	.size	__hip_cuid_3cf6a845eb9aef19, 1

	.ident	"AMD clang version 19.0.0git (https://github.com/RadeonOpenCompute/llvm-project roc-6.4.0 25133 c7fe45cf4b819c5991fe208aaa96edf142730f1d)"
	.section	".note.GNU-stack","",@progbits
	.addrsig
	.addrsig_sym __hip_cuid_3cf6a845eb9aef19
	.amdgpu_metadata
---
amdhsa.kernels:
  - .args:
      - .actual_access:  read_only
        .address_space:  global
        .offset:         0
        .size:           8
        .value_kind:     global_buffer
      - .actual_access:  read_only
        .address_space:  global
        .offset:         8
        .size:           8
        .value_kind:     global_buffer
      - .actual_access:  read_only
        .address_space:  global
        .offset:         16
        .size:           8
        .value_kind:     global_buffer
      - .actual_access:  read_only
        .address_space:  global
        .offset:         24
        .size:           8
        .value_kind:     global_buffer
      - .actual_access:  read_only
        .address_space:  global
        .offset:         32
        .size:           8
        .value_kind:     global_buffer
      - .offset:         40
        .size:           8
        .value_kind:     by_value
      - .address_space:  global
        .offset:         48
        .size:           8
        .value_kind:     global_buffer
      - .address_space:  global
        .offset:         56
        .size:           8
        .value_kind:     global_buffer
      - .address_space:  global
        .offset:         64
        .size:           8
        .value_kind:     global_buffer
      - .address_space:  global
        .offset:         72
        .size:           8
        .value_kind:     global_buffer
      - .offset:         80
        .size:           4
        .value_kind:     by_value
      - .address_space:  global
        .offset:         88
        .size:           8
        .value_kind:     global_buffer
      - .address_space:  global
        .offset:         96
        .size:           8
        .value_kind:     global_buffer
    .group_segment_fixed_size: 64736
    .kernarg_segment_align: 8
    .kernarg_segment_size: 104
    .language:       OpenCL C
    .language_version:
      - 2
      - 0
    .max_flat_workgroup_size: 238
    .name:           bluestein_single_fwd_len578_dim1_dp_op_CI_CI
    .private_segment_fixed_size: 228
    .sgpr_count:     72
    .sgpr_spill_count: 0
    .symbol:         bluestein_single_fwd_len578_dim1_dp_op_CI_CI.kd
    .uniform_work_group_size: 1
    .uses_dynamic_stack: false
    .vgpr_count:     256
    .vgpr_spill_count: 56
    .wavefront_size: 64
amdhsa.target:   amdgcn-amd-amdhsa--gfx906
amdhsa.version:
  - 1
  - 2
...

	.end_amdgpu_metadata
